;; amdgpu-corpus repo=ROCm/rocFFT kind=compiled arch=gfx1201 opt=O3
	.text
	.amdgcn_target "amdgcn-amd-amdhsa--gfx1201"
	.amdhsa_code_object_version 6
	.protected	bluestein_single_back_len195_dim1_sp_op_CI_CI ; -- Begin function bluestein_single_back_len195_dim1_sp_op_CI_CI
	.globl	bluestein_single_back_len195_dim1_sp_op_CI_CI
	.p2align	8
	.type	bluestein_single_back_len195_dim1_sp_op_CI_CI,@function
bluestein_single_back_len195_dim1_sp_op_CI_CI: ; @bluestein_single_back_len195_dim1_sp_op_CI_CI
; %bb.0:
	s_load_b128 s[12:15], s[0:1], 0x28
	v_mul_u32_u24_e32 v1, 0x13b2, v0
	v_mov_b32_e32 v103, 0
	s_mov_b32 s2, exec_lo
	s_delay_alu instid0(VALU_DEP_2) | instskip(NEXT) | instid1(VALU_DEP_1)
	v_lshrrev_b32_e32 v4, 16, v1
	v_lshl_add_u32 v102, ttmp9, 2, v4
	s_wait_kmcnt 0x0
	s_delay_alu instid0(VALU_DEP_1)
	v_cmpx_gt_u64_e64 s[12:13], v[102:103]
	s_cbranch_execz .LBB0_15
; %bb.1:
	s_clause 0x1
	s_load_b128 s[4:7], s[0:1], 0x18
	s_load_b64 s[12:13], s[0:1], 0x0
	v_mul_lo_u16 v1, v4, 13
	s_delay_alu instid0(VALU_DEP_1) | instskip(NEXT) | instid1(VALU_DEP_1)
	v_sub_nc_u16 v31, v0, v1
	v_and_b32_e32 v124, 0xffff, v31
	s_wait_kmcnt 0x0
	s_load_b128 s[8:11], s[4:5], 0x0
	s_wait_kmcnt 0x0
	v_mad_co_u64_u32 v[0:1], null, s10, v102, 0
	v_mad_co_u64_u32 v[2:3], null, s8, v124, 0
	s_mul_u64 s[2:3], s[8:9], 0x78
	s_delay_alu instid0(VALU_DEP_1) | instskip(SKIP_1) | instid1(VALU_DEP_1)
	v_mad_co_u64_u32 v[5:6], null, s11, v102, v[1:2]
	s_load_b64 s[10:11], s[0:1], 0x38
	v_mov_b32_e32 v1, v5
	s_delay_alu instid0(VALU_DEP_3) | instskip(SKIP_2) | instid1(VALU_DEP_4)
	v_mad_co_u64_u32 v[6:7], null, s9, v124, v[3:4]
	v_or_b32_e32 v123, 28, v124
	v_or_b32_e32 v122, 58, v124
	v_lshlrev_b64_e32 v[0:1], 3, v[0:1]
	v_lshlrev_b32_e32 v72, 3, v124
	v_or_b32_e32 v121, 0x58, v124
	v_or_b32_e32 v119, 0x76, v124
	v_mov_b32_e32 v3, v6
	v_or_b32_e32 v120, 0x94, v124
	s_clause 0x7
	global_load_b64 v[109:110], v72, s[12:13]
	global_load_b64 v[111:112], v72, s[12:13] offset:120
	global_load_b64 v[107:108], v72, s[12:13] offset:240
	;; [unrolled: 1-line block ×7, first 2 shown]
	v_or_b32_e32 v118, 0xb2, v124
	v_lshlrev_b64_e32 v[5:6], 3, v[2:3]
	v_add_co_u32 v2, vcc_lo, s14, v0
	v_add_co_ci_u32_e32 v3, vcc_lo, s15, v1, vcc_lo
	s_delay_alu instid0(VALU_DEP_2) | instskip(SKIP_1) | instid1(VALU_DEP_2)
	v_add_co_u32 v0, vcc_lo, v2, v5
	s_wait_alu 0xfffd
	v_add_co_ci_u32_e32 v1, vcc_lo, v3, v6, vcc_lo
	s_delay_alu instid0(VALU_DEP_2) | instskip(SKIP_1) | instid1(VALU_DEP_2)
	v_add_co_u32 v5, vcc_lo, v0, s2
	s_wait_alu 0xfffd
	;; [unrolled: 4-line block ×3, first 2 shown]
	v_add_co_ci_u32_e32 v8, vcc_lo, s3, v6, vcc_lo
	s_clause 0x1
	global_load_b64 v[9:10], v[0:1], off
	global_load_b64 v[5:6], v[5:6], off
	v_add_co_u32 v0, vcc_lo, v7, s2
	s_wait_alu 0xfffd
	v_add_co_ci_u32_e32 v1, vcc_lo, s3, v8, vcc_lo
	s_clause 0x2
	global_load_b64 v[86:87], v72, s[12:13] offset:960
	global_load_b64 v[92:93], v72, s[12:13] offset:1080
	;; [unrolled: 1-line block ×3, first 2 shown]
	v_add_co_u32 v11, vcc_lo, v0, s2
	s_wait_alu 0xfffd
	v_add_co_ci_u32_e32 v12, vcc_lo, s3, v1, vcc_lo
	s_clause 0x1
	global_load_b64 v[7:8], v[7:8], off
	global_load_b64 v[13:14], v[0:1], off
	v_add_co_u32 v0, vcc_lo, v11, s2
	s_wait_alu 0xfffd
	v_add_co_ci_u32_e32 v1, vcc_lo, s3, v12, vcc_lo
	global_load_b64 v[11:12], v[11:12], off
	v_add_co_u32 v15, vcc_lo, v0, s2
	s_wait_alu 0xfffd
	v_add_co_ci_u32_e32 v16, vcc_lo, s3, v1, vcc_lo
	;; [unrolled: 4-line block ×8, first 2 shown]
	global_load_b64 v[98:99], v72, s[12:13] offset:1320
	global_load_b64 v[27:28], v[27:28], off
	global_load_b64 v[100:101], v72, s[12:13] offset:1440
	global_load_b64 v[29:30], v[0:1], off
	v_and_b32_e32 v4, 3, v4
	v_cmp_gt_u16_e32 vcc_lo, 2, v31
	s_load_b128 s[4:7], s[6:7], 0x0
	v_add_co_u32 v84, s2, s12, v72
	s_wait_alu 0xf1ff
	v_add_co_ci_u32_e64 v85, null, s13, 0, s2
	s_wait_loadcnt 0x11
	v_mul_f32_e32 v31, v10, v110
	v_mul_u32_u24_e32 v4, 0xc3, v4
	v_mul_f32_e32 v32, v9, v110
	s_wait_loadcnt 0x10
	v_mul_f32_e32 v33, v5, v112
	v_fmac_f32_e32 v31, v9, v109
	v_lshlrev_b32_e32 v125, 3, v4
	v_mul_f32_e32 v4, v6, v112
	v_fma_f32 v32, v10, v109, -v32
	s_wait_loadcnt 0xc
	v_mul_f32_e32 v10, v7, v108
	v_add_nc_u32_e32 v117, v125, v72
	s_wait_loadcnt 0xb
	v_dual_fmac_f32 v4, v5, v111 :: v_dual_mul_f32 v9, v14, v104
	v_fma_f32 v5, v6, v111, -v33
	s_delay_alu instid0(VALU_DEP_2)
	v_dual_mul_f32 v6, v8, v108 :: v_dual_fmac_f32 v9, v13, v103
	ds_store_2addr_b64 v117, v[31:32], v[4:5] offset1:15
	v_dual_fmac_f32 v6, v7, v107 :: v_dual_mul_f32 v5, v13, v104
	s_wait_loadcnt 0x9
	v_dual_mul_f32 v4, v12, v106 :: v_dual_mul_f32 v13, v18, v91
	v_fma_f32 v7, v8, v107, -v10
	v_dual_mul_f32 v8, v11, v106 :: v_dual_mul_f32 v31, v17, v91
	s_delay_alu instid0(VALU_DEP_3) | instskip(SKIP_2) | instid1(VALU_DEP_4)
	v_fmac_f32_e32 v4, v11, v105
	v_fma_f32 v10, v14, v103, -v5
	v_fmac_f32_e32 v13, v17, v90
	v_fma_f32 v5, v12, v105, -v8
	v_fma_f32 v14, v18, v90, -v31
	s_wait_loadcnt 0x7
	v_mul_f32_e32 v8, v22, v97
	ds_store_2addr_b64 v117, v[6:7], v[9:10] offset0:30 offset1:45
	v_mul_f32_e32 v6, v16, v95
	v_mul_f32_e32 v7, v15, v95
	ds_store_2addr_b64 v117, v[4:5], v[13:14] offset0:60 offset1:75
	s_wait_loadcnt 0x6
	v_dual_mul_f32 v5, v21, v97 :: v_dual_mul_f32 v4, v20, v87
	v_fmac_f32_e32 v6, v15, v94
	v_fmac_f32_e32 v8, v21, v96
	s_wait_loadcnt 0x5
	v_mul_f32_e32 v10, v26, v93
	v_fma_f32 v9, v22, v96, -v5
	v_mul_f32_e32 v5, v19, v87
	v_mul_f32_e32 v11, v25, v93
	v_fma_f32 v7, v16, v94, -v7
	s_wait_loadcnt 0x4
	v_mul_f32_e32 v12, v24, v89
	v_mul_f32_e32 v13, v23, v89
	v_fmac_f32_e32 v4, v19, v86
	s_wait_loadcnt 0x2
	v_mul_f32_e32 v14, v28, v99
	v_mul_f32_e32 v15, v27, v99
	s_wait_loadcnt 0x0
	v_mul_f32_e32 v17, v29, v101
	v_fmac_f32_e32 v10, v25, v92
	v_mul_f32_e32 v16, v30, v101
	v_fma_f32 v5, v20, v86, -v5
	v_fma_f32 v11, v26, v92, -v11
	v_fmac_f32_e32 v12, v23, v88
	v_fma_f32 v13, v24, v88, -v13
	v_fmac_f32_e32 v14, v27, v98
	;; [unrolled: 2-line block ×3, first 2 shown]
	v_fma_f32 v17, v30, v100, -v17
	ds_store_2addr_b64 v117, v[6:7], v[8:9] offset0:90 offset1:105
	ds_store_2addr_b64 v117, v[4:5], v[10:11] offset0:120 offset1:135
	;; [unrolled: 1-line block ×3, first 2 shown]
	ds_store_b64 v117, v[16:17] offset:1440
	s_and_saveexec_b32 s3, vcc_lo
	s_cbranch_execz .LBB0_3
; %bb.2:
	v_mad_co_u64_u32 v[4:5], null, s8, v123, 0
	v_mad_co_u64_u32 v[6:7], null, s8, v122, 0
	;; [unrolled: 1-line block ×3, first 2 shown]
	s_mul_i32 s2, s9, 0xfffffac8
	s_mul_u64 s[14:15], s[8:9], 0xf0
	s_wait_alu 0xfffe
	s_sub_co_i32 s2, s2, s8
	v_mad_co_u64_u32 v[31:32], null, s8, v118, 0
	s_delay_alu instid0(VALU_DEP_3) | instskip(SKIP_1) | instid1(VALU_DEP_2)
	v_mad_co_u64_u32 v[8:9], null, s9, v123, v[5:6]
	v_mad_co_u64_u32 v[9:10], null, s8, v121, 0
	;; [unrolled: 1-line block ×3, first 2 shown]
	s_delay_alu instid0(VALU_DEP_2) | instskip(NEXT) | instid1(VALU_DEP_1)
	v_dual_mov_b32 v5, v8 :: v_dual_mov_b32 v8, v10
	v_lshlrev_b64_e32 v[4:5], 3, v[4:5]
	s_delay_alu instid0(VALU_DEP_2)
	v_mad_co_u64_u32 v[13:14], null, s9, v121, v[8:9]
	v_mad_co_u64_u32 v[14:15], null, s8, v119, 0
	v_mov_b32_e32 v7, v11
	s_wait_alu 0xfffe
	v_add_nc_u32_e32 v1, s2, v1
	v_add_co_u32 v11, s2, v0, s14
	v_mov_b32_e32 v10, v13
	v_mov_b32_e32 v8, v15
	v_lshlrev_b64_e32 v[6:7], 3, v[6:7]
	s_wait_alu 0xf1ff
	v_add_co_ci_u32_e64 v12, s2, s15, v1, s2
	v_add_co_u32 v4, s2, v2, v4
	s_wait_alu 0xf1ff
	v_add_co_ci_u32_e64 v5, s2, v3, v5, s2
	v_add_co_u32 v6, s2, v2, v6
	s_wait_alu 0xf1ff
	v_add_co_ci_u32_e64 v7, s2, v3, v7, s2
	global_load_b64 v[0:1], v[0:1], off
	global_load_b64 v[4:5], v[4:5], off
	;; [unrolled: 1-line block ×4, first 2 shown]
	v_add_co_u32 v11, s2, v11, s14
	s_wait_alu 0xf1ff
	v_add_co_ci_u32_e64 v12, s2, s15, v12, s2
	s_clause 0x3
	global_load_b64 v[21:22], v[84:85], off offset:104
	global_load_b64 v[23:24], v[84:85], off offset:224
	;; [unrolled: 1-line block ×4, first 2 shown]
	global_load_b64 v[29:30], v[11:12], off
	v_lshlrev_b64_e32 v[9:10], 3, v[9:10]
	s_delay_alu instid0(VALU_DEP_1) | instskip(SKIP_3) | instid1(VALU_DEP_4)
	v_mad_co_u64_u32 v[18:19], null, s9, v119, v[8:9]
	v_mad_co_u64_u32 v[19:20], null, s8, v120, 0
	v_add_co_u32 v8, s2, v2, v9
	s_wait_alu 0xf1ff
	v_add_co_ci_u32_e64 v9, s2, v3, v10, s2
	s_delay_alu instid0(VALU_DEP_4)
	v_mov_b32_e32 v15, v18
	v_add_co_u32 v11, s2, v11, s14
	v_mov_b32_e32 v10, v20
	s_wait_alu 0xf1ff
	v_add_co_ci_u32_e64 v12, s2, s15, v12, s2
	v_lshlrev_b64_e32 v[13:14], 3, v[14:15]
	s_delay_alu instid0(VALU_DEP_3)
	v_mad_co_u64_u32 v[33:34], null, s9, v120, v[10:11]
	v_mov_b32_e32 v10, v32
	global_load_b64 v[8:9], v[8:9], off
	global_load_b64 v[34:35], v[11:12], off
	v_add_co_u32 v13, s2, v2, v13
	s_wait_alu 0xf1ff
	v_add_co_ci_u32_e64 v14, s2, v3, v14, s2
	v_mov_b32_e32 v20, v33
	s_clause 0x2
	global_load_b64 v[36:37], v[84:85], off offset:584
	global_load_b64 v[38:39], v[84:85], off offset:704
	;; [unrolled: 1-line block ×3, first 2 shown]
	global_load_b64 v[13:14], v[13:14], off
	global_load_b64 v[42:43], v[84:85], off offset:944
	v_lshlrev_b64_e32 v[18:19], 3, v[19:20]
	s_wait_loadcnt 0x9
	v_mul_f32_e32 v15, v17, v26
	v_mad_co_u64_u32 v[32:33], null, s9, v118, v[10:11]
	v_add_co_u32 v10, s2, v11, s14
	s_wait_alu 0xf1ff
	v_add_co_ci_u32_e64 v11, s2, s15, v12, s2
	v_add_co_u32 v18, s2, v2, v18
	s_delay_alu instid0(VALU_DEP_4)
	v_lshlrev_b64_e32 v[31:32], 3, v[31:32]
	s_wait_alu 0xf1ff
	v_add_co_ci_u32_e64 v19, s2, v3, v19, s2
	global_load_b64 v[44:45], v[10:11], off
	global_load_b64 v[46:47], v[84:85], off offset:1064
	global_load_b64 v[18:19], v[18:19], off
	global_load_b64 v[48:49], v[84:85], off offset:1184
	v_dual_mul_f32 v20, v1, v22 :: v_dual_fmac_f32 v15, v16, v25
	v_add_co_u32 v2, s2, v2, v31
	s_wait_alu 0xf1ff
	v_add_co_ci_u32_e64 v3, s2, v3, v32, s2
	v_add_co_u32 v10, s2, v10, s14
	s_wait_alu 0xf1ff
	v_add_co_ci_u32_e64 v11, s2, s15, v11, s2
	global_load_b64 v[2:3], v[2:3], off
	s_clause 0x1
	global_load_b64 v[31:32], v[84:85], off offset:1424
	global_load_b64 v[50:51], v[84:85], off offset:1304
	global_load_b64 v[52:53], v[10:11], off
	v_add_co_u32 v10, s2, v10, s14
	s_wait_alu 0xf1ff
	v_add_co_ci_u32_e64 v11, s2, s15, v11, s2
	global_load_b64 v[54:55], v[84:85], off offset:1544
	global_load_b64 v[10:11], v[10:11], off
	s_wait_loadcnt 0xc
	v_dual_mul_f32 v12, v0, v22 :: v_dual_mul_f32 v33, v35, v41
	v_fmac_f32_e32 v20, v0, v21
	v_mul_f32_e32 v0, v30, v37
	v_mul_f32_e32 v22, v34, v41
	s_delay_alu instid0(VALU_DEP_4) | instskip(SKIP_2) | instid1(VALU_DEP_4)
	v_fma_f32 v21, v1, v21, -v12
	v_dual_mul_f32 v1, v16, v26 :: v_dual_mul_f32 v12, v29, v37
	v_fmac_f32_e32 v33, v34, v40
	v_fma_f32 v34, v35, v40, -v22
	v_mul_f32_e32 v35, v9, v39
	s_delay_alu instid0(VALU_DEP_4) | instskip(NEXT) | instid1(VALU_DEP_2)
	v_fma_f32 v16, v17, v25, -v1
	v_fmac_f32_e32 v35, v8, v38
	s_wait_loadcnt 0x8
	v_mul_f32_e32 v25, v45, v47
	s_wait_loadcnt 0x6
	v_dual_fmac_f32 v0, v29, v36 :: v_dual_mul_f32 v17, v19, v49
	v_mul_f32_e32 v22, v5, v24
	v_mul_f32_e32 v24, v4, v24
	;; [unrolled: 1-line block ×3, first 2 shown]
	v_fma_f32 v1, v30, v36, -v12
	v_mul_f32_e32 v36, v8, v39
	v_mul_f32_e32 v28, v6, v28
	;; [unrolled: 1-line block ×3, first 2 shown]
	v_dual_mul_f32 v40, v13, v43 :: v_dual_fmac_f32 v17, v18, v48
	s_wait_loadcnt 0x4
	v_mul_f32_e32 v37, v3, v32
	s_wait_loadcnt 0x2
	v_dual_mul_f32 v39, v53, v51 :: v_dual_mul_f32 v32, v2, v32
	v_dual_mul_f32 v26, v44, v47 :: v_dual_mul_f32 v41, v18, v49
	v_mul_f32_e32 v43, v52, v51
	v_fma_f32 v36, v9, v38, -v36
	v_fmac_f32_e32 v37, v2, v31
	v_fmac_f32_e32 v39, v52, v50
	v_fma_f32 v38, v3, v31, -v32
	s_wait_loadcnt 0x0
	v_mul_f32_e32 v2, v11, v55
	v_mul_f32_e32 v3, v10, v55
	v_fmac_f32_e32 v25, v44, v46
	v_fmac_f32_e32 v22, v4, v23
	v_fma_f32 v23, v5, v23, -v24
	v_dual_fmac_f32 v29, v6, v27 :: v_dual_fmac_f32 v12, v13, v42
	v_fma_f32 v30, v7, v27, -v28
	v_fma_f32 v13, v14, v42, -v40
	;; [unrolled: 1-line block ×5, first 2 shown]
	v_fmac_f32_e32 v2, v10, v54
	v_fma_f32 v3, v11, v54, -v3
	ds_store_2addr_b64 v117, v[20:21], v[22:23] offset0:13 offset1:28
	ds_store_2addr_b64 v117, v[15:16], v[29:30] offset0:43 offset1:58
	;; [unrolled: 1-line block ×6, first 2 shown]
	ds_store_b64 v117, v[2:3] offset:1544
.LBB0_3:
	s_wait_alu 0xfffe
	s_or_b32 exec_lo, exec_lo, s3
	global_wb scope:SCOPE_SE
	s_wait_dscnt 0x0
	s_wait_kmcnt 0x0
	s_barrier_signal -1
	s_barrier_wait -1
	global_inv scope:SCOPE_SE
	ds_load_2addr_b64 v[44:47], v117 offset1:15
	ds_load_2addr_b64 v[32:35], v117 offset0:30 offset1:45
	ds_load_2addr_b64 v[20:23], v117 offset0:60 offset1:75
	;; [unrolled: 1-line block ×5, first 2 shown]
	ds_load_b64 v[50:51], v117 offset:1440
	s_load_b64 s[2:3], s[0:1], 0x8
	v_mov_b32_e32 v0, 0
	v_mov_b32_e32 v1, 0
                                        ; implicit-def: $vgpr10
                                        ; implicit-def: $vgpr4
                                        ; implicit-def: $vgpr12
                                        ; implicit-def: $vgpr48
                                        ; implicit-def: $vgpr30
                                        ; implicit-def: $vgpr38
	s_and_saveexec_b32 s0, vcc_lo
	s_cbranch_execz .LBB0_5
; %bb.4:
	ds_load_2addr_b64 v[0:3], v117 offset0:13 offset1:28
	ds_load_2addr_b64 v[36:39], v117 offset0:43 offset1:58
	;; [unrolled: 1-line block ×6, first 2 shown]
	ds_load_b64 v[48:49], v117 offset:1544
.LBB0_5:
	s_wait_alu 0xfffe
	s_or_b32 exec_lo, exec_lo, s0
	s_wait_dscnt 0x6
	v_dual_add_f32 v52, v44, v46 :: v_dual_add_f32 v53, v45, v47
	s_wait_dscnt 0x0
	v_dual_add_f32 v54, v50, v46 :: v_dual_sub_f32 v55, v47, v51
	v_sub_f32_e32 v56, v46, v50
	s_delay_alu instid0(VALU_DEP_3) | instskip(SKIP_2) | instid1(VALU_DEP_3)
	v_dual_add_f32 v52, v52, v32 :: v_dual_add_f32 v53, v53, v33
	v_sub_f32_e32 v142, v9, v11
	v_add_co_u32 v73, null, v124, 13
	v_add_f32_e32 v46, v52, v34
	s_delay_alu instid0(VALU_DEP_4) | instskip(SKIP_2) | instid1(VALU_DEP_4)
	v_add_f32_e32 v52, v53, v35
	v_add_f32_e32 v53, v51, v47
	v_mul_f32_e32 v57, 0xbeedf032, v56
	v_dual_mul_f32 v47, 0xbeedf032, v55 :: v_dual_add_f32 v46, v46, v20
	s_delay_alu instid0(VALU_DEP_4) | instskip(SKIP_1) | instid1(VALU_DEP_3)
	v_dual_add_f32 v52, v52, v21 :: v_dual_mul_f32 v59, 0xbf52af12, v56
	v_mul_f32_e32 v71, 0xbf29c268, v56
	v_fma_f32 v63, 0x3f62ad3f, v54, -v47
	v_fmac_f32_e32 v47, 0x3f62ad3f, v54
	v_add_f32_e32 v46, v46, v22
	v_fmamk_f32 v66, v53, 0x3f116cb1, v59
	v_fma_f32 v59, 0x3f116cb1, v53, -v59
	v_add_f32_e32 v63, v44, v63
	s_delay_alu instid0(VALU_DEP_4) | instskip(SKIP_2) | instid1(VALU_DEP_3)
	v_dual_add_f32 v69, v44, v47 :: v_dual_add_f32 v46, v46, v16
	v_add_f32_e32 v52, v52, v23
	v_dual_mul_f32 v60, 0xbf7e222b, v55 :: v_dual_mul_f32 v61, 0xbf7e222b, v56
	v_dual_add_f32 v59, v45, v59 :: v_dual_add_f32 v46, v46, v18
	s_delay_alu instid0(VALU_DEP_3) | instskip(NEXT) | instid1(VALU_DEP_3)
	v_dual_add_f32 v52, v52, v17 :: v_dual_add_f32 v79, v42, v32
	v_fmamk_f32 v68, v53, 0x3df6dbef, v61
	s_delay_alu instid0(VALU_DEP_3) | instskip(NEXT) | instid1(VALU_DEP_3)
	v_dual_fmamk_f32 v75, v53, 0xbf3f9e67, v71 :: v_dual_add_f32 v46, v46, v24
	v_add_f32_e32 v52, v52, v19
	v_fma_f32 v67, 0x3df6dbef, v54, -v60
	global_wb scope:SCOPE_SE
	s_wait_kmcnt 0x0
	s_barrier_signal -1
	v_add_f32_e32 v46, v46, v26
	s_barrier_wait -1
	global_inv scope:SCOPE_SE
	v_add_f32_e32 v75, v45, v75
	v_dual_sub_f32 v77, v33, v43 :: v_dual_add_f32 v46, v46, v40
	v_dual_sub_f32 v32, v32, v42 :: v_dual_add_f32 v33, v43, v33
	v_add_f32_e32 v81, v15, v37
	s_delay_alu instid0(VALU_DEP_3) | instskip(NEXT) | instid1(VALU_DEP_4)
	v_mul_f32_e32 v80, 0xbf52af12, v77
	v_dual_add_f32 v46, v46, v42 :: v_dual_sub_f32 v113, v37, v15
	v_sub_f32_e32 v143, v8, v10
	s_delay_alu instid0(VALU_DEP_2) | instskip(SKIP_3) | instid1(VALU_DEP_3)
	v_add_f32_e32 v46, v46, v50
	v_fma_f32 v50, 0x3df6dbef, v53, -v61
	v_dual_add_f32 v61, v45, v68 :: v_dual_add_f32 v52, v52, v25
	v_mul_f32_e32 v115, 0xbf6f5d39, v113
	v_dual_mul_f32 v145, 0x3eedf032, v143 :: v_dual_add_f32 v50, v45, v50
	s_delay_alu instid0(VALU_DEP_3) | instskip(NEXT) | instid1(VALU_DEP_1)
	v_add_f32_e32 v52, v52, v27
	v_dual_mul_f32 v58, 0xbf52af12, v55 :: v_dual_add_f32 v47, v52, v41
	s_delay_alu instid0(VALU_DEP_1) | instskip(SKIP_1) | instid1(VALU_DEP_3)
	v_fma_f32 v65, 0x3f116cb1, v54, -v58
	v_mul_f32_e32 v62, 0xbf6f5d39, v55
	v_dual_add_f32 v47, v47, v43 :: v_dual_fmamk_f32 v64, v53, 0x3f62ad3f, v57
	v_fma_f32 v57, 0x3f62ad3f, v53, -v57
	v_mul_f32_e32 v43, 0xbf52af12, v32
	s_delay_alu instid0(VALU_DEP_3) | instskip(NEXT) | instid1(VALU_DEP_3)
	v_dual_add_f32 v47, v47, v51 :: v_dual_add_f32 v64, v45, v64
	v_add_f32_e32 v52, v45, v57
	v_add_f32_e32 v57, v44, v65
	v_fma_f32 v51, 0xbeb58ec6, v54, -v62
	v_mul_f32_e32 v68, 0xbf29c268, v55
	v_mul_f32_e32 v55, 0xbe750f2a, v55
	s_delay_alu instid0(VALU_DEP_3)
	v_add_f32_e32 v51, v44, v51
	v_dual_add_f32 v65, v45, v66 :: v_dual_add_f32 v66, v44, v67
	v_mul_f32_e32 v67, 0xbf6f5d39, v56
	v_fma_f32 v74, 0xbf3f9e67, v54, -v68
	v_fmac_f32_e32 v68, 0xbf3f9e67, v54
	v_fma_f32 v76, 0xbf788fa5, v54, -v55
	v_fmac_f32_e32 v55, 0xbf788fa5, v54
	v_fmamk_f32 v70, v53, 0xbeb58ec6, v67
	v_fma_f32 v67, 0xbeb58ec6, v53, -v67
	v_fmac_f32_e32 v58, 0x3f116cb1, v54
	s_delay_alu instid0(VALU_DEP_3) | instskip(NEXT) | instid1(VALU_DEP_3)
	v_add_f32_e32 v70, v45, v70
	v_add_f32_e32 v67, v45, v67
	v_fma_f32 v71, 0xbf3f9e67, v53, -v71
	s_delay_alu instid0(VALU_DEP_4) | instskip(NEXT) | instid1(VALU_DEP_2)
	v_add_f32_e32 v58, v44, v58
	v_dual_add_f32 v76, v44, v76 :: v_dual_add_f32 v71, v45, v71
	v_mul_f32_e32 v56, 0xbe750f2a, v56
	s_delay_alu instid0(VALU_DEP_1)
	v_fmamk_f32 v78, v53, 0xbf788fa5, v56
	v_fma_f32 v42, 0xbf788fa5, v53, -v56
	v_fma_f32 v53, 0x3f116cb1, v79, -v80
	v_fmac_f32_e32 v80, 0x3f116cb1, v79
	v_fmac_f32_e32 v60, 0x3df6dbef, v54
	v_add_f32_e32 v78, v45, v78
	v_add_f32_e32 v42, v45, v42
	v_add_f32_e32 v45, v53, v63
	v_mul_f32_e32 v53, 0xbf6f5d39, v77
	v_fmac_f32_e32 v62, 0xbeb58ec6, v54
	v_fmamk_f32 v54, v33, 0x3f116cb1, v43
	v_add_f32_e32 v68, v44, v68
	v_fma_f32 v43, 0x3f116cb1, v33, -v43
	v_fma_f32 v56, 0xbeb58ec6, v79, -v53
	v_add_f32_e32 v63, v80, v69
	v_add_f32_e32 v60, v44, v60
	v_dual_add_f32 v54, v54, v64 :: v_dual_fmac_f32 v53, 0xbeb58ec6, v79
	s_delay_alu instid0(VALU_DEP_4)
	v_add_f32_e32 v56, v56, v57
	v_dual_mul_f32 v57, 0xbe750f2a, v77 :: v_dual_add_f32 v74, v44, v74
	v_mul_f32_e32 v64, 0xbe750f2a, v32
	v_add_f32_e32 v62, v44, v62
	v_dual_add_f32 v44, v44, v55 :: v_dual_mul_f32 v55, 0xbf6f5d39, v32
	v_add_f32_e32 v43, v43, v52
	v_dual_add_f32 v53, v53, v58 :: v_dual_add_f32 v80, v14, v36
	v_sub_f32_e32 v114, v36, v14
	s_delay_alu instid0(VALU_DEP_4) | instskip(SKIP_1) | instid1(VALU_DEP_4)
	v_fmamk_f32 v52, v33, 0xbeb58ec6, v55
	v_fma_f32 v55, 0xbeb58ec6, v33, -v55
	v_fma_f32 v127, 0xbeb58ec6, v80, -v115
	s_delay_alu instid0(VALU_DEP_3)
	v_dual_fmac_f32 v115, 0xbeb58ec6, v80 :: v_dual_add_f32 v52, v52, v65
	v_fma_f32 v65, 0xbf788fa5, v79, -v57
	v_fmac_f32_e32 v57, 0xbf788fa5, v79
	v_add_f32_e32 v55, v55, v59
	v_fmamk_f32 v59, v33, 0xbf788fa5, v64
	v_mul_f32_e32 v58, 0x3f29c268, v77
	v_fma_f32 v64, 0xbf788fa5, v33, -v64
	v_dual_add_f32 v57, v57, v60 :: v_dual_mul_f32 v60, 0x3f7e222b, v77
	s_delay_alu instid0(VALU_DEP_4)
	v_add_f32_e32 v59, v59, v61
	v_mul_f32_e32 v61, 0x3f29c268, v32
	v_add_f32_e32 v65, v65, v66
	v_fma_f32 v66, 0xbf3f9e67, v79, -v58
	v_fma_f32 v69, 0x3df6dbef, v79, -v60
	v_fmac_f32_e32 v60, 0x3df6dbef, v79
	v_fmac_f32_e32 v58, 0xbf3f9e67, v79
	s_delay_alu instid0(VALU_DEP_2)
	v_dual_add_f32 v51, v66, v51 :: v_dual_add_f32 v60, v60, v68
	v_dual_sub_f32 v68, v35, v41 :: v_dual_add_f32 v35, v41, v35
	v_add_f32_e32 v50, v64, v50
	v_fmamk_f32 v64, v33, 0xbf3f9e67, v61
	v_fma_f32 v61, 0xbf3f9e67, v33, -v61
	v_add_f32_e32 v58, v58, v62
	s_delay_alu instid0(VALU_DEP_2) | instskip(SKIP_3) | instid1(VALU_DEP_2)
	v_dual_add_f32 v64, v64, v70 :: v_dual_add_f32 v61, v61, v67
	v_add_f32_e32 v67, v69, v74
	v_mul_f32_e32 v69, 0x3eedf032, v77
	v_dual_mul_f32 v66, 0x3f7e222b, v32 :: v_dual_add_f32 v77, v49, v3
	v_fma_f32 v70, 0x3f62ad3f, v79, -v69
	s_delay_alu instid0(VALU_DEP_2) | instskip(SKIP_2) | instid1(VALU_DEP_2)
	v_fmamk_f32 v62, v33, 0x3df6dbef, v66
	v_fma_f32 v66, 0x3df6dbef, v33, -v66
	v_fmac_f32_e32 v69, 0x3f62ad3f, v79
	v_dual_add_f32 v66, v66, v71 :: v_dual_add_f32 v71, v40, v34
	v_sub_f32_e32 v34, v34, v40
	v_add_f32_e32 v62, v62, v75
	v_mul_f32_e32 v32, 0x3eedf032, v32
	v_mul_f32_e32 v75, 0xbf7e222b, v68
	s_delay_alu instid0(VALU_DEP_4) | instskip(NEXT) | instid1(VALU_DEP_3)
	v_dual_add_f32 v41, v69, v44 :: v_dual_mul_f32 v40, 0xbf7e222b, v34
	v_fmamk_f32 v74, v33, 0x3f62ad3f, v32
	v_fma_f32 v32, 0x3f62ad3f, v33, -v32
	s_delay_alu instid0(VALU_DEP_4) | instskip(NEXT) | instid1(VALU_DEP_4)
	v_fma_f32 v33, 0x3df6dbef, v71, -v75
	v_fmamk_f32 v44, v35, 0x3df6dbef, v40
	v_fma_f32 v40, 0x3df6dbef, v35, -v40
	s_delay_alu instid0(VALU_DEP_4) | instskip(NEXT) | instid1(VALU_DEP_4)
	v_dual_fmac_f32 v75, 0x3df6dbef, v71 :: v_dual_add_f32 v32, v32, v42
	v_add_f32_e32 v33, v33, v45
	s_delay_alu instid0(VALU_DEP_3) | instskip(SKIP_3) | instid1(VALU_DEP_4)
	v_dual_mul_f32 v45, 0xbe750f2a, v34 :: v_dual_add_f32 v40, v40, v43
	v_mul_f32_e32 v42, 0xbe750f2a, v68
	v_add_f32_e32 v44, v44, v54
	v_add_f32_e32 v54, v75, v63
	v_fmamk_f32 v43, v35, 0xbf788fa5, v45
	v_fma_f32 v45, 0xbf788fa5, v35, -v45
	v_fma_f32 v69, 0xbf788fa5, v71, -v42
	v_mul_f32_e32 v63, 0x3f6f5d39, v68
	s_delay_alu instid0(VALU_DEP_4) | instskip(NEXT) | instid1(VALU_DEP_4)
	v_add_f32_e32 v43, v43, v52
	v_dual_add_f32 v45, v45, v55 :: v_dual_mul_f32 v52, 0x3f6f5d39, v34
	s_delay_alu instid0(VALU_DEP_4) | instskip(NEXT) | instid1(VALU_DEP_4)
	v_add_f32_e32 v56, v69, v56
	v_fma_f32 v69, 0xbeb58ec6, v71, -v63
	v_fmac_f32_e32 v63, 0xbeb58ec6, v71
	s_delay_alu instid0(VALU_DEP_4) | instskip(SKIP_1) | instid1(VALU_DEP_4)
	v_fmamk_f32 v55, v35, 0xbeb58ec6, v52
	v_fma_f32 v52, 0xbeb58ec6, v35, -v52
	v_add_f32_e32 v65, v69, v65
	s_delay_alu instid0(VALU_DEP_4) | instskip(NEXT) | instid1(VALU_DEP_4)
	v_add_f32_e32 v57, v63, v57
	v_add_f32_e32 v55, v55, v59
	v_mul_f32_e32 v59, 0x3eedf032, v34
	v_add_f32_e32 v50, v52, v50
	v_mul_f32_e32 v52, 0xbf52af12, v68
	s_delay_alu instid0(VALU_DEP_3) | instskip(SKIP_1) | instid1(VALU_DEP_3)
	v_fmamk_f32 v63, v35, 0x3f62ad3f, v59
	v_fma_f32 v59, 0x3f62ad3f, v35, -v59
	v_fma_f32 v75, 0x3f116cb1, v71, -v52
	s_delay_alu instid0(VALU_DEP_3) | instskip(NEXT) | instid1(VALU_DEP_3)
	v_dual_add_f32 v74, v74, v78 :: v_dual_add_f32 v63, v63, v64
	v_add_f32_e32 v59, v59, v61
	s_delay_alu instid0(VALU_DEP_3) | instskip(SKIP_3) | instid1(VALU_DEP_3)
	v_add_f32_e32 v61, v75, v67
	v_fmac_f32_e32 v52, 0x3f116cb1, v71
	v_mul_f32_e32 v64, 0xbf29c268, v68
	v_add_f32_e32 v75, v18, v16
	v_add_f32_e32 v52, v52, v60
	v_dual_sub_f32 v60, v21, v27 :: v_dual_add_f32 v21, v27, v21
	v_fmac_f32_e32 v42, 0xbf788fa5, v71
	v_fma_f32 v67, 0xbf3f9e67, v71, -v64
	s_delay_alu instid0(VALU_DEP_2) | instskip(SKIP_2) | instid1(VALU_DEP_3)
	v_dual_add_f32 v42, v42, v53 :: v_dual_mul_f32 v53, 0x3eedf032, v68
	v_add_f32_e32 v70, v70, v76
	v_add_f32_e32 v76, v48, v2
	v_fma_f32 v69, 0x3f62ad3f, v71, -v53
	v_fmac_f32_e32 v53, 0x3f62ad3f, v71
	s_delay_alu instid0(VALU_DEP_2) | instskip(SKIP_1) | instid1(VALU_DEP_3)
	v_add_f32_e32 v51, v69, v51
	v_mul_f32_e32 v69, 0xbf52af12, v34
	v_add_f32_e32 v53, v53, v58
	v_mul_f32_e32 v34, 0xbf29c268, v34
	s_delay_alu instid0(VALU_DEP_3) | instskip(NEXT) | instid1(VALU_DEP_1)
	v_fmamk_f32 v58, v35, 0x3f116cb1, v69
	v_add_f32_e32 v58, v58, v62
	v_fma_f32 v62, 0x3f116cb1, v35, -v69
	v_mul_f32_e32 v69, 0xbf6f5d39, v60
	v_fmac_f32_e32 v64, 0xbf3f9e67, v71
	s_delay_alu instid0(VALU_DEP_3)
	v_add_f32_e32 v62, v62, v66
	v_dual_add_f32 v66, v67, v70 :: v_dual_add_f32 v67, v26, v20
	v_sub_f32_e32 v20, v20, v26
	v_fmamk_f32 v68, v35, 0xbf3f9e67, v34
	v_fma_f32 v26, 0xbf3f9e67, v35, -v34
	v_add_f32_e32 v35, v64, v41
	v_fma_f32 v34, 0xbeb58ec6, v67, -v69
	v_mul_f32_e32 v27, 0xbf6f5d39, v20
	v_mul_f32_e32 v41, 0x3f29c268, v20
	v_dual_add_f32 v26, v26, v32 :: v_dual_fmac_f32 v69, 0xbeb58ec6, v67
	s_delay_alu instid0(VALU_DEP_4) | instskip(NEXT) | instid1(VALU_DEP_4)
	v_add_f32_e32 v32, v34, v33
	v_fmamk_f32 v34, v21, 0xbeb58ec6, v27
	v_fma_f32 v27, 0xbeb58ec6, v21, -v27
	v_dual_sub_f32 v70, v17, v19 :: v_dual_add_f32 v17, v19, v17
	v_sub_f32_e32 v16, v16, v18
	s_delay_alu instid0(VALU_DEP_4) | instskip(NEXT) | instid1(VALU_DEP_4)
	v_add_f32_e32 v34, v34, v44
	v_dual_add_f32 v27, v27, v40 :: v_dual_fmamk_f32 v40, v21, 0xbf3f9e67, v41
	v_fma_f32 v41, 0xbf3f9e67, v21, -v41
	s_delay_alu instid0(VALU_DEP_4) | instskip(NEXT) | instid1(VALU_DEP_3)
	v_dual_mul_f32 v19, 0xbe750f2a, v16 :: v_dual_mul_f32 v18, 0xbe750f2a, v70
	v_dual_add_f32 v40, v40, v43 :: v_dual_mul_f32 v43, 0x3eedf032, v20
	s_delay_alu instid0(VALU_DEP_3) | instskip(NEXT) | instid1(VALU_DEP_2)
	v_add_f32_e32 v41, v41, v45
	v_fmamk_f32 v45, v21, 0x3f62ad3f, v43
	v_fma_f32 v43, 0x3f62ad3f, v21, -v43
	s_delay_alu instid0(VALU_DEP_2) | instskip(SKIP_2) | instid1(VALU_DEP_4)
	v_add_f32_e32 v45, v45, v55
	v_mul_f32_e32 v55, 0xbf7e222b, v20
	v_dual_mul_f32 v33, 0x3f29c268, v60 :: v_dual_add_f32 v44, v69, v54
	v_add_f32_e32 v43, v43, v50
	s_delay_alu instid0(VALU_DEP_2) | instskip(NEXT) | instid1(VALU_DEP_1)
	v_fma_f32 v64, 0xbf3f9e67, v67, -v33
	v_dual_fmac_f32 v33, 0xbf3f9e67, v67 :: v_dual_add_f32 v54, v64, v56
	s_delay_alu instid0(VALU_DEP_1) | instskip(SKIP_1) | instid1(VALU_DEP_2)
	v_dual_mul_f32 v56, 0x3eedf032, v60 :: v_dual_add_f32 v33, v33, v42
	v_mul_f32_e32 v42, 0xbf7e222b, v60
	v_fma_f32 v64, 0x3f62ad3f, v67, -v56
	v_fmac_f32_e32 v56, 0x3f62ad3f, v67
	s_delay_alu instid0(VALU_DEP_2) | instskip(NEXT) | instid1(VALU_DEP_4)
	v_add_f32_e32 v64, v64, v65
	v_fma_f32 v65, 0x3df6dbef, v67, -v42
	s_delay_alu instid0(VALU_DEP_3) | instskip(SKIP_1) | instid1(VALU_DEP_3)
	v_dual_add_f32 v56, v56, v57 :: v_dual_fmamk_f32 v57, v21, 0x3df6dbef, v55
	v_fma_f32 v55, 0x3df6dbef, v21, -v55
	v_dual_add_f32 v50, v65, v51 :: v_dual_mul_f32 v51, 0x3e750f2a, v60
	s_delay_alu instid0(VALU_DEP_3) | instskip(SKIP_2) | instid1(VALU_DEP_4)
	v_add_f32_e32 v57, v57, v63
	v_fmac_f32_e32 v42, 0x3df6dbef, v67
	v_mul_f32_e32 v60, 0x3f52af12, v60
	v_fma_f32 v69, 0xbf788fa5, v67, -v51
	s_delay_alu instid0(VALU_DEP_3) | instskip(SKIP_2) | instid1(VALU_DEP_4)
	v_dual_fmac_f32 v51, 0xbf788fa5, v67 :: v_dual_add_f32 v42, v42, v53
	v_add_f32_e32 v53, v55, v59
	v_mul_f32_e32 v65, 0x3e750f2a, v20
	v_add_f32_e32 v59, v69, v61
	v_fma_f32 v61, 0x3f116cb1, v67, -v60
	v_mul_f32_e32 v20, 0x3f52af12, v20
	v_add_f32_e32 v51, v51, v52
	v_fmamk_f32 v55, v21, 0xbf788fa5, v65
	s_delay_alu instid0(VALU_DEP_4) | instskip(NEXT) | instid1(VALU_DEP_4)
	v_add_f32_e32 v61, v61, v66
	v_dual_add_f32 v68, v68, v74 :: v_dual_fmamk_f32 v63, v21, 0x3f116cb1, v20
	s_delay_alu instid0(VALU_DEP_3) | instskip(SKIP_3) | instid1(VALU_DEP_3)
	v_add_f32_e32 v55, v55, v58
	v_fma_f32 v58, 0xbf788fa5, v21, -v65
	v_fma_f32 v20, 0x3f116cb1, v21, -v20
	v_dual_add_f32 v21, v25, v23 :: v_dual_sub_f32 v52, v23, v25
	v_add_f32_e32 v58, v58, v62
	v_dual_add_f32 v62, v63, v68 :: v_dual_add_f32 v63, v24, v22
	s_delay_alu instid0(VALU_DEP_3)
	v_mul_f32_e32 v65, 0xbf29c268, v52
	v_sub_f32_e32 v22, v22, v24
	v_fmac_f32_e32 v60, 0x3f116cb1, v67
	v_add_f32_e32 v20, v20, v26
	v_mul_f32_e32 v26, 0x3f7e222b, v52
	v_fma_f32 v23, 0xbf3f9e67, v63, -v65
	s_delay_alu instid0(VALU_DEP_4) | instskip(SKIP_1) | instid1(VALU_DEP_4)
	v_dual_mul_f32 v24, 0xbf29c268, v22 :: v_dual_add_f32 v25, v60, v35
	v_fmac_f32_e32 v65, 0xbf3f9e67, v63
	v_fma_f32 v35, 0x3df6dbef, v63, -v26
	s_delay_alu instid0(VALU_DEP_3) | instskip(SKIP_1) | instid1(VALU_DEP_2)
	v_dual_add_f32 v23, v23, v32 :: v_dual_fmamk_f32 v32, v21, 0xbf3f9e67, v24
	v_fma_f32 v24, 0xbf3f9e67, v21, -v24
	v_add_f32_e32 v32, v32, v34
	v_mul_f32_e32 v60, 0x3f7e222b, v22
	s_delay_alu instid0(VALU_DEP_3) | instskip(SKIP_2) | instid1(VALU_DEP_4)
	v_dual_add_f32 v24, v24, v27 :: v_dual_add_f32 v27, v35, v54
	v_add_f32_e32 v34, v65, v44
	v_fmac_f32_e32 v26, 0x3df6dbef, v63
	v_fmamk_f32 v35, v21, 0x3df6dbef, v60
	v_fma_f32 v54, 0x3df6dbef, v21, -v60
	s_delay_alu instid0(VALU_DEP_2) | instskip(NEXT) | instid1(VALU_DEP_2)
	v_dual_add_f32 v26, v26, v33 :: v_dual_add_f32 v35, v35, v40
	v_dual_mul_f32 v44, 0xbf52af12, v52 :: v_dual_add_f32 v33, v54, v41
	v_mul_f32_e32 v60, 0xbf52af12, v22
	s_delay_alu instid0(VALU_DEP_2) | instskip(NEXT) | instid1(VALU_DEP_1)
	v_fma_f32 v40, 0x3f116cb1, v63, -v44
	v_dual_fmamk_f32 v41, v21, 0x3f116cb1, v60 :: v_dual_add_f32 v64, v40, v64
	v_fma_f32 v40, 0x3f116cb1, v21, -v60
	s_delay_alu instid0(VALU_DEP_2) | instskip(SKIP_1) | instid1(VALU_DEP_3)
	v_dual_add_f32 v60, v41, v45 :: v_dual_mul_f32 v45, 0x3e750f2a, v22
	v_fmac_f32_e32 v44, 0x3f116cb1, v63
	v_dual_add_f32 v65, v40, v43 :: v_dual_mul_f32 v54, 0x3e750f2a, v52
	s_delay_alu instid0(VALU_DEP_3) | instskip(NEXT) | instid1(VALU_DEP_3)
	v_fma_f32 v43, 0xbf788fa5, v21, -v45
	v_add_f32_e32 v56, v44, v56
	s_delay_alu instid0(VALU_DEP_3) | instskip(NEXT) | instid1(VALU_DEP_3)
	v_fma_f32 v41, 0xbf788fa5, v63, -v54
	v_dual_add_f32 v53, v43, v53 :: v_dual_fmac_f32 v54, 0xbf788fa5, v63
	s_delay_alu instid0(VALU_DEP_2) | instskip(SKIP_2) | instid1(VALU_DEP_2)
	v_add_f32_e32 v66, v41, v50
	v_fmamk_f32 v41, v21, 0xbf788fa5, v45
	v_mul_f32_e32 v45, 0x3eedf032, v22
	v_dual_add_f32 v54, v54, v42 :: v_dual_add_f32 v67, v41, v57
	v_mul_f32_e32 v40, 0x3eedf032, v52
	s_delay_alu instid0(VALU_DEP_3) | instskip(SKIP_1) | instid1(VALU_DEP_3)
	v_fmamk_f32 v41, v21, 0x3f62ad3f, v45
	v_fma_f32 v43, 0x3f62ad3f, v21, -v45
	v_fma_f32 v44, 0x3f62ad3f, v63, -v40
	s_delay_alu instid0(VALU_DEP_2) | instskip(NEXT) | instid1(VALU_DEP_4)
	v_dual_add_f32 v69, v43, v58 :: v_dual_mul_f32 v42, 0xbf6f5d39, v52
	v_add_f32_e32 v52, v41, v55
	v_fmac_f32_e32 v40, 0x3f62ad3f, v63
	s_delay_alu instid0(VALU_DEP_4) | instskip(NEXT) | instid1(VALU_DEP_4)
	v_add_f32_e32 v68, v44, v59
	v_fma_f32 v41, 0xbeb58ec6, v63, -v42
	s_delay_alu instid0(VALU_DEP_3) | instskip(SKIP_2) | instid1(VALU_DEP_4)
	v_dual_add_f32 v55, v40, v51 :: v_dual_mul_f32 v22, 0xbf6f5d39, v22
	v_fmamk_f32 v40, v17, 0xbf788fa5, v19
	v_fma_f32 v19, 0xbf788fa5, v17, -v19
	v_add_f32_e32 v71, v41, v61
	s_delay_alu instid0(VALU_DEP_4) | instskip(SKIP_3) | instid1(VALU_DEP_4)
	v_fmamk_f32 v44, v21, 0xbeb58ec6, v22
	v_fma_f32 v21, 0xbeb58ec6, v21, -v22
	v_fma_f32 v22, 0xbf788fa5, v75, -v18
	v_dual_fmac_f32 v18, 0xbf788fa5, v75 :: v_dual_add_f32 v45, v40, v32
	v_add_f32_e32 v74, v44, v62
	s_delay_alu instid0(VALU_DEP_4) | instskip(NEXT) | instid1(VALU_DEP_4)
	v_dual_add_f32 v20, v21, v20 :: v_dual_mul_f32 v21, 0x3eedf032, v70
	v_dual_add_f32 v44, v22, v23 :: v_dual_mul_f32 v23, 0x3eedf032, v16
	v_fmac_f32_e32 v42, 0xbeb58ec6, v63
	v_add_f32_e32 v40, v18, v34
	s_delay_alu instid0(VALU_DEP_4) | instskip(SKIP_3) | instid1(VALU_DEP_4)
	v_fma_f32 v22, 0x3f62ad3f, v75, -v21
	v_dual_add_f32 v41, v19, v24 :: v_dual_mul_f32 v18, 0xbf29c268, v70
	v_fmamk_f32 v19, v17, 0x3f62ad3f, v23
	v_fmac_f32_e32 v21, 0x3f62ad3f, v75
	v_add_f32_e32 v50, v22, v27
	v_fma_f32 v22, 0x3f62ad3f, v17, -v23
	v_mul_f32_e32 v23, 0xbf29c268, v16
	v_add_f32_e32 v25, v42, v25
	v_fma_f32 v24, 0xbf3f9e67, v75, -v18
	v_dual_add_f32 v51, v19, v35 :: v_dual_add_f32 v42, v21, v26
	v_add_f32_e32 v43, v22, v33
	v_dual_fmamk_f32 v19, v17, 0xbf3f9e67, v23 :: v_dual_fmac_f32 v18, 0xbf3f9e67, v75
	v_mul_f32_e32 v21, 0x3f52af12, v70
	v_fma_f32 v22, 0xbf3f9e67, v17, -v23
	v_add_f32_e32 v58, v24, v64
	s_delay_alu instid0(VALU_DEP_4)
	v_add_f32_e32 v59, v19, v60
	v_mul_f32_e32 v19, 0x3f52af12, v16
	v_add_f32_e32 v56, v18, v56
	v_fma_f32 v18, 0x3f116cb1, v75, -v21
	v_dual_add_f32 v57, v22, v65 :: v_dual_mul_f32 v22, 0xbf6f5d39, v70
	v_fmac_f32_e32 v21, 0x3f116cb1, v75
	s_delay_alu instid0(VALU_DEP_3) | instskip(SKIP_1) | instid1(VALU_DEP_4)
	v_dual_fmamk_f32 v23, v17, 0x3f116cb1, v19 :: v_dual_add_f32 v60, v18, v66
	v_fma_f32 v18, 0x3f116cb1, v17, -v19
	v_fma_f32 v19, 0xbeb58ec6, v75, -v22
	s_delay_alu instid0(VALU_DEP_4) | instskip(NEXT) | instid1(VALU_DEP_4)
	v_dual_add_f32 v62, v21, v54 :: v_dual_mul_f32 v21, 0xbf6f5d39, v16
	v_add_f32_e32 v61, v23, v67
	s_delay_alu instid0(VALU_DEP_3) | instskip(NEXT) | instid1(VALU_DEP_3)
	v_dual_add_f32 v63, v18, v53 :: v_dual_add_f32 v64, v19, v68
	v_fmamk_f32 v19, v17, 0xbeb58ec6, v21
	v_mul_f32_e32 v16, 0x3f7e222b, v16
	v_fma_f32 v21, 0xbeb58ec6, v17, -v21
	s_delay_alu instid0(VALU_DEP_2) | instskip(NEXT) | instid1(VALU_DEP_2)
	v_fmamk_f32 v24, v17, 0x3df6dbef, v16
	v_add_f32_e32 v67, v21, v69
	v_sub_f32_e32 v21, v2, v48
	s_delay_alu instid0(VALU_DEP_3) | instskip(SKIP_2) | instid1(VALU_DEP_4)
	v_add_f32_e32 v69, v24, v74
	v_add_f32_e32 v65, v19, v52
	v_sub_f32_e32 v19, v3, v49
	v_mul_f32_e32 v33, 0xbf6f5d39, v21
	s_delay_alu instid0(VALU_DEP_2) | instskip(NEXT) | instid1(VALU_DEP_2)
	v_dual_mul_f32 v54, 0xbf29c268, v21 :: v_dual_mul_f32 v35, 0xbf29c268, v19
	v_fmamk_f32 v52, v77, 0xbeb58ec6, v33
	v_fma_f32 v33, 0xbeb58ec6, v77, -v33
	v_mul_f32_e32 v74, 0xbeedf032, v19
	s_delay_alu instid0(VALU_DEP_4) | instskip(NEXT) | instid1(VALU_DEP_3)
	v_fma_f32 v53, 0xbf3f9e67, v76, -v35
	v_dual_mul_f32 v18, 0x3f7e222b, v70 :: v_dual_add_f32 v33, v33, v1
	v_fmac_f32_e32 v35, 0xbf3f9e67, v76
	s_delay_alu instid0(VALU_DEP_3) | instskip(NEXT) | instid1(VALU_DEP_3)
	v_dual_fmac_f32 v22, 0xbeb58ec6, v75 :: v_dual_add_f32 v53, v53, v0
	v_fma_f32 v23, 0x3df6dbef, v75, -v18
	s_delay_alu instid0(VALU_DEP_3) | instskip(NEXT) | instid1(VALU_DEP_3)
	v_dual_fmac_f32 v18, 0x3df6dbef, v75 :: v_dual_add_f32 v35, v35, v0
	v_dual_add_f32 v66, v22, v55 :: v_dual_fmamk_f32 v55, v77, 0xbf3f9e67, v54
	s_delay_alu instid0(VALU_DEP_3) | instskip(NEXT) | instid1(VALU_DEP_3)
	v_add_f32_e32 v68, v23, v71
	v_add_f32_e32 v70, v18, v25
	v_mul_f32_e32 v25, 0xbf7e222b, v21
	v_mul_f32_e32 v75, 0xbeedf032, v21
	v_add_f32_e32 v55, v55, v1
	v_fma_f32 v16, 0x3df6dbef, v17, -v16
	v_mul_f32_e32 v22, 0xbf52af12, v19
	v_fmamk_f32 v27, v77, 0x3df6dbef, v25
	v_fma_f32 v18, 0x3f62ad3f, v77, -v75
	v_fma_f32 v25, 0x3df6dbef, v77, -v25
	v_add_f32_e32 v71, v16, v20
	s_delay_alu instid0(VALU_DEP_4) | instskip(SKIP_3) | instid1(VALU_DEP_2)
	v_add_f32_e32 v27, v27, v1
	v_mul_f32_e32 v16, 0xbf52af12, v21
	v_mul_f32_e32 v21, 0xbe750f2a, v21
	v_dual_add_f32 v25, v25, v1 :: v_dual_mul_f32 v32, 0xbf6f5d39, v19
	v_fmamk_f32 v79, v77, 0xbf788fa5, v21
	v_fma_f32 v21, 0xbf788fa5, v77, -v21
	s_delay_alu instid0(VALU_DEP_3) | instskip(NEXT) | instid1(VALU_DEP_3)
	v_fma_f32 v34, 0xbeb58ec6, v76, -v32
	v_dual_fmac_f32 v32, 0xbeb58ec6, v76 :: v_dual_add_f32 v83, v79, v1
	v_mul_f32_e32 v79, 0xbf52af12, v114
	v_fma_f32 v23, 0x3f116cb1, v76, -v22
	v_dual_fmac_f32 v22, 0x3f116cb1, v76 :: v_dual_add_f32 v21, v21, v1
	v_mul_f32_e32 v128, 0xbf6f5d39, v114
	s_delay_alu instid0(VALU_DEP_4) | instskip(NEXT) | instid1(VALU_DEP_4)
	v_fma_f32 v126, 0x3f116cb1, v81, -v79
	v_dual_add_f32 v20, v23, v0 :: v_dual_mul_f32 v23, 0xbf7e222b, v19
	v_dual_mul_f32 v19, 0xbe750f2a, v19 :: v_dual_add_f32 v18, v18, v1
	v_add_f32_e32 v32, v32, v0
	s_delay_alu instid0(VALU_DEP_3) | instskip(SKIP_1) | instid1(VALU_DEP_4)
	v_add_f32_e32 v20, v127, v20
	v_fma_f32 v127, 0xbeb58ec6, v81, -v128
	v_fma_f32 v78, 0xbf788fa5, v76, -v19
	v_dual_fmac_f32 v19, 0xbf788fa5, v76 :: v_dual_add_f32 v18, v126, v18
	v_fmamk_f32 v126, v81, 0xbeb58ec6, v128
	v_mul_f32_e32 v128, 0xbe750f2a, v114
	v_add_f32_e32 v22, v22, v0
	v_add_f32_e32 v82, v78, v0
	v_dual_mul_f32 v78, 0xbf52af12, v113 :: v_dual_add_f32 v19, v19, v0
	s_delay_alu instid0(VALU_DEP_3) | instskip(SKIP_1) | instid1(VALU_DEP_3)
	v_dual_fmamk_f32 v17, v76, 0x3f62ad3f, v74 :: v_dual_add_f32 v22, v115, v22
	v_fmamk_f32 v115, v81, 0xbf788fa5, v128
	v_fmamk_f32 v116, v80, 0x3f116cb1, v78
	v_fma_f32 v26, 0x3df6dbef, v76, -v23
	s_delay_alu instid0(VALU_DEP_4) | instskip(SKIP_3) | instid1(VALU_DEP_4)
	v_add_f32_e32 v17, v17, v0
	v_fmac_f32_e32 v23, 0x3df6dbef, v76
	v_dual_add_f32 v27, v115, v27 :: v_dual_fmamk_f32 v24, v77, 0x3f116cb1, v16
	v_mul_f32_e32 v115, 0x3f29c268, v114
	v_add_f32_e32 v17, v116, v17
	s_delay_alu instid0(VALU_DEP_4) | instskip(NEXT) | instid1(VALU_DEP_4)
	v_dual_mul_f32 v116, 0xbe750f2a, v113 :: v_dual_add_f32 v23, v23, v0
	v_add_f32_e32 v24, v24, v1
	v_fma_f32 v16, 0x3f116cb1, v77, -v16
	v_add_f32_e32 v34, v34, v0
	s_delay_alu instid0(VALU_DEP_4) | instskip(SKIP_3) | instid1(VALU_DEP_3)
	v_fma_f32 v129, 0xbf788fa5, v80, -v116
	v_fmac_f32_e32 v116, 0xbf788fa5, v80
	v_add_f32_e32 v24, v126, v24
	v_mul_f32_e32 v126, 0x3f29c268, v113
	v_dual_add_f32 v26, v26, v0 :: v_dual_add_f32 v23, v116, v23
	s_delay_alu instid0(VALU_DEP_2) | instskip(SKIP_1) | instid1(VALU_DEP_1)
	v_fma_f32 v116, 0xbf3f9e67, v80, -v126
	v_fmac_f32_e32 v126, 0xbf3f9e67, v80
	v_add_f32_e32 v32, v126, v32
	v_mul_f32_e32 v126, 0x3f7e222b, v114
	v_add_f32_e32 v16, v16, v1
	v_mul_f32_e32 v114, 0x3eedf032, v114
	s_delay_alu instid0(VALU_DEP_2) | instskip(SKIP_3) | instid1(VALU_DEP_3)
	v_add_f32_e32 v16, v127, v16
	v_fma_f32 v127, 0xbf788fa5, v81, -v128
	v_fmamk_f32 v128, v81, 0xbf3f9e67, v115
	v_fma_f32 v115, 0xbf3f9e67, v81, -v115
	v_add_f32_e32 v25, v127, v25
	v_mul_f32_e32 v127, 0x3f7e222b, v113
	s_delay_alu instid0(VALU_DEP_3) | instskip(SKIP_3) | instid1(VALU_DEP_3)
	v_add_f32_e32 v33, v115, v33
	v_dual_fmamk_f32 v115, v81, 0x3df6dbef, v126 :: v_dual_add_f32 v34, v116, v34
	v_dual_mul_f32 v113, 0x3eedf032, v113 :: v_dual_add_f32 v26, v129, v26
	v_sub_f32_e32 v129, v38, v12
	v_add_f32_e32 v55, v115, v55
	v_add_f32_e32 v115, v12, v38
	;; [unrolled: 1-line block ×3, first 2 shown]
	v_fma_f32 v54, 0xbf3f9e67, v77, -v54
	v_fma_f32 v116, 0x3df6dbef, v80, -v127
	v_fmac_f32_e32 v127, 0x3df6dbef, v80
	s_delay_alu instid0(VALU_DEP_4) | instskip(SKIP_1) | instid1(VALU_DEP_3)
	v_add_f32_e32 v52, v128, v52
	v_fmamk_f32 v128, v81, 0x3f62ad3f, v114
	v_dual_add_f32 v54, v54, v1 :: v_dual_add_f32 v35, v127, v35
	v_add_f32_e32 v53, v116, v53
	v_fma_f32 v116, 0x3df6dbef, v81, -v126
	v_fma_f32 v126, 0x3f62ad3f, v80, -v113
	v_dual_add_f32 v127, v128, v83 :: v_dual_sub_f32 v128, v39, v13
	v_fmac_f32_e32 v113, 0x3f62ad3f, v80
	v_fma_f32 v114, 0x3f62ad3f, v81, -v114
	s_delay_alu instid0(VALU_DEP_4)
	v_add_f32_e32 v126, v126, v82
	v_add_f32_e32 v54, v116, v54
	;; [unrolled: 1-line block ×3, first 2 shown]
	v_dual_add_f32 v19, v113, v19 :: v_dual_mul_f32 v82, 0xbf7e222b, v128
	v_mul_f32_e32 v83, 0xbf7e222b, v129
	v_dual_add_f32 v21, v114, v21 :: v_dual_mul_f32 v130, 0xbe750f2a, v128
	s_delay_alu instid0(VALU_DEP_3) | instskip(NEXT) | instid1(VALU_DEP_3)
	v_fmamk_f32 v113, v115, 0x3df6dbef, v82
	v_fma_f32 v131, 0x3df6dbef, v116, -v83
	s_delay_alu instid0(VALU_DEP_3) | instskip(NEXT) | instid1(VALU_DEP_3)
	v_fma_f32 v132, 0xbf788fa5, v115, -v130
	v_add_f32_e32 v17, v113, v17
	s_delay_alu instid0(VALU_DEP_3) | instskip(NEXT) | instid1(VALU_DEP_3)
	v_dual_mul_f32 v113, 0x3f6f5d39, v128 :: v_dual_add_f32 v18, v131, v18
	v_add_f32_e32 v20, v132, v20
	v_mul_f32_e32 v132, 0x3f6f5d39, v129
	s_delay_alu instid0(VALU_DEP_3) | instskip(SKIP_1) | instid1(VALU_DEP_1)
	v_fma_f32 v133, 0xbeb58ec6, v115, -v113
	v_fmac_f32_e32 v113, 0xbeb58ec6, v115
	v_dual_add_f32 v23, v113, v23 :: v_dual_mul_f32 v114, 0xbe750f2a, v129
	s_delay_alu instid0(VALU_DEP_1) | instskip(SKIP_1) | instid1(VALU_DEP_2)
	v_fmamk_f32 v131, v116, 0xbf788fa5, v114
	v_fma_f32 v114, 0xbf788fa5, v116, -v114
	v_add_f32_e32 v24, v131, v24
	v_fma_f32 v131, 0xbeb58ec6, v116, -v132
	s_delay_alu instid0(VALU_DEP_3) | instskip(NEXT) | instid1(VALU_DEP_2)
	v_add_f32_e32 v16, v114, v16
	v_dual_fmamk_f32 v114, v116, 0xbeb58ec6, v132 :: v_dual_add_f32 v25, v131, v25
	v_fmac_f32_e32 v130, 0xbf788fa5, v115
	v_add_f32_e32 v26, v133, v26
	v_sub_f32_e32 v133, v28, v6
	s_delay_alu instid0(VALU_DEP_4) | instskip(NEXT) | instid1(VALU_DEP_4)
	v_dual_add_f32 v27, v114, v27 :: v_dual_mul_f32 v114, 0x3eedf032, v129
	v_add_f32_e32 v22, v130, v22
	v_mul_f32_e32 v130, 0x3eedf032, v128
	v_mul_f32_e32 v131, 0xbf52af12, v128
	s_delay_alu instid0(VALU_DEP_4) | instskip(NEXT) | instid1(VALU_DEP_3)
	v_fmamk_f32 v132, v116, 0x3f62ad3f, v114
	v_fma_f32 v113, 0x3f62ad3f, v115, -v130
	v_fmac_f32_e32 v130, 0x3f62ad3f, v115
	s_delay_alu instid0(VALU_DEP_2) | instskip(SKIP_3) | instid1(VALU_DEP_3)
	v_add_f32_e32 v34, v113, v34
	v_fma_f32 v113, 0x3f62ad3f, v116, -v114
	v_fma_f32 v114, 0x3f116cb1, v115, -v131
	v_fmac_f32_e32 v131, 0x3f116cb1, v115
	v_add_f32_e32 v33, v113, v33
	s_delay_alu instid0(VALU_DEP_3) | instskip(NEXT) | instid1(VALU_DEP_3)
	v_add_f32_e32 v53, v114, v53
	v_dual_mul_f32 v114, 0xbf29c268, v129 :: v_dual_add_f32 v35, v131, v35
	v_add_f32_e32 v131, v6, v28
	v_add_f32_e32 v52, v132, v52
	v_mul_f32_e32 v113, 0xbf29c268, v128
	s_delay_alu instid0(VALU_DEP_4) | instskip(NEXT) | instid1(VALU_DEP_1)
	v_fmamk_f32 v132, v116, 0xbf3f9e67, v114
	v_dual_add_f32 v127, v132, v127 :: v_dual_add_f32 v32, v130, v32
	v_mul_f32_e32 v130, 0xbf52af12, v129
	v_sub_f32_e32 v132, v29, v7
	s_delay_alu instid0(VALU_DEP_2) | instskip(SKIP_3) | instid1(VALU_DEP_4)
	v_fmamk_f32 v128, v116, 0x3f116cb1, v130
	v_fma_f32 v129, 0x3f116cb1, v116, -v130
	v_fma_f32 v130, 0xbf3f9e67, v115, -v113
	v_fmac_f32_e32 v113, 0xbf3f9e67, v115
	v_dual_mul_f32 v134, 0x3f29c268, v132 :: v_dual_add_f32 v55, v128, v55
	s_delay_alu instid0(VALU_DEP_4) | instskip(NEXT) | instid1(VALU_DEP_4)
	v_add_f32_e32 v54, v129, v54
	v_dual_add_f32 v129, v130, v126 :: v_dual_mul_f32 v126, 0xbf6f5d39, v132
	v_add_f32_e32 v130, v7, v29
	v_dual_mul_f32 v128, 0xbf6f5d39, v133 :: v_dual_add_f32 v19, v113, v19
	v_fma_f32 v136, 0xbf3f9e67, v131, -v134
	s_delay_alu instid0(VALU_DEP_4) | instskip(SKIP_1) | instid1(VALU_DEP_4)
	v_fmamk_f32 v113, v131, 0xbeb58ec6, v126
	v_fma_f32 v114, 0xbf3f9e67, v116, -v114
	v_fma_f32 v135, 0xbeb58ec6, v130, -v128
	s_delay_alu instid0(VALU_DEP_3) | instskip(NEXT) | instid1(VALU_DEP_3)
	v_dual_fmac_f32 v134, 0xbf3f9e67, v131 :: v_dual_add_f32 v17, v113, v17
	v_add_f32_e32 v21, v114, v21
	v_mul_f32_e32 v114, 0x3f29c268, v133
	s_delay_alu instid0(VALU_DEP_4) | instskip(NEXT) | instid1(VALU_DEP_4)
	v_dual_add_f32 v18, v135, v18 :: v_dual_mul_f32 v113, 0x3eedf032, v132
	v_add_f32_e32 v22, v134, v22
	v_mul_f32_e32 v134, 0xbf7e222b, v132
	s_delay_alu instid0(VALU_DEP_4) | instskip(SKIP_3) | instid1(VALU_DEP_4)
	v_dual_fmamk_f32 v135, v130, 0xbf3f9e67, v114 :: v_dual_add_f32 v20, v136, v20
	v_fma_f32 v114, 0xbf3f9e67, v130, -v114
	v_mul_f32_e32 v136, 0x3eedf032, v133
	v_fma_f32 v137, 0x3f62ad3f, v131, -v113
	v_dual_fmac_f32 v113, 0x3f62ad3f, v131 :: v_dual_add_f32 v24, v135, v24
	s_delay_alu instid0(VALU_DEP_4) | instskip(NEXT) | instid1(VALU_DEP_4)
	v_add_f32_e32 v16, v114, v16
	v_fmamk_f32 v114, v130, 0x3f62ad3f, v136
	v_fma_f32 v135, 0x3f62ad3f, v130, -v136
	s_delay_alu instid0(VALU_DEP_4) | instskip(SKIP_4) | instid1(VALU_DEP_4)
	v_add_f32_e32 v23, v113, v23
	v_fma_f32 v113, 0x3df6dbef, v131, -v134
	v_fmac_f32_e32 v134, 0x3df6dbef, v131
	v_dual_add_f32 v27, v114, v27 :: v_dual_mul_f32 v114, 0xbf7e222b, v133
	v_add_f32_e32 v25, v135, v25
	v_dual_mul_f32 v135, 0x3e750f2a, v132 :: v_dual_add_f32 v34, v113, v34
	s_delay_alu instid0(VALU_DEP_3) | instskip(SKIP_1) | instid1(VALU_DEP_3)
	v_fmamk_f32 v136, v130, 0x3df6dbef, v114
	v_fma_f32 v113, 0x3df6dbef, v130, -v114
	v_fma_f32 v114, 0xbf788fa5, v131, -v135
	v_fmac_f32_e32 v135, 0xbf788fa5, v131
	s_delay_alu instid0(VALU_DEP_3) | instskip(NEXT) | instid1(VALU_DEP_3)
	v_add_f32_e32 v33, v113, v33
	v_add_f32_e32 v53, v114, v53
	s_delay_alu instid0(VALU_DEP_3) | instskip(SKIP_2) | instid1(VALU_DEP_3)
	v_dual_mul_f32 v114, 0x3f52af12, v133 :: v_dual_add_f32 v35, v135, v35
	v_dual_add_f32 v135, v5, v31 :: v_dual_add_f32 v52, v136, v52
	v_mul_f32_e32 v113, 0x3f52af12, v132
	v_fmamk_f32 v136, v130, 0x3f116cb1, v114
	v_dual_add_f32 v26, v137, v26 :: v_dual_sub_f32 v137, v30, v4
	s_delay_alu instid0(VALU_DEP_2) | instskip(SKIP_2) | instid1(VALU_DEP_2)
	v_dual_add_f32 v127, v136, v127 :: v_dual_add_f32 v32, v134, v32
	v_mul_f32_e32 v134, 0x3e750f2a, v133
	v_sub_f32_e32 v136, v31, v5
	v_fmamk_f32 v132, v130, 0xbf788fa5, v134
	v_fma_f32 v133, 0xbf788fa5, v130, -v134
	v_fma_f32 v134, 0x3f116cb1, v131, -v113
	v_fmac_f32_e32 v113, 0x3f116cb1, v131
	s_delay_alu instid0(VALU_DEP_4) | instskip(NEXT) | instid1(VALU_DEP_3)
	v_dual_mul_f32 v138, 0x3f7e222b, v136 :: v_dual_add_f32 v55, v132, v55
	v_dual_mul_f32 v132, 0xbf29c268, v136 :: v_dual_add_f32 v129, v134, v129
	v_add_f32_e32 v134, v4, v30
	v_dual_add_f32 v54, v133, v54 :: v_dual_mul_f32 v133, 0xbf29c268, v137
	v_add_f32_e32 v19, v113, v19
	s_delay_alu instid0(VALU_DEP_3) | instskip(SKIP_1) | instid1(VALU_DEP_4)
	v_fmamk_f32 v113, v134, 0xbf3f9e67, v132
	v_fma_f32 v114, 0x3f116cb1, v130, -v114
	v_fma_f32 v139, 0xbf3f9e67, v135, -v133
	;; [unrolled: 1-line block ×3, first 2 shown]
	s_delay_alu instid0(VALU_DEP_4) | instskip(NEXT) | instid1(VALU_DEP_4)
	v_dual_fmac_f32 v138, 0x3df6dbef, v134 :: v_dual_add_f32 v17, v113, v17
	v_add_f32_e32 v21, v114, v21
	v_mul_f32_e32 v114, 0x3f7e222b, v137
	v_dual_add_f32 v18, v139, v18 :: v_dual_mul_f32 v113, 0xbf52af12, v136
	s_delay_alu instid0(VALU_DEP_2) | instskip(SKIP_2) | instid1(VALU_DEP_4)
	v_dual_fmamk_f32 v139, v135, 0x3df6dbef, v114 :: v_dual_add_f32 v20, v140, v20
	v_fma_f32 v114, 0x3df6dbef, v135, -v114
	v_mul_f32_e32 v140, 0xbf52af12, v137
	v_fma_f32 v141, 0x3f116cb1, v134, -v113
	s_delay_alu instid0(VALU_DEP_4) | instskip(NEXT) | instid1(VALU_DEP_4)
	v_dual_fmac_f32 v113, 0x3f116cb1, v134 :: v_dual_add_f32 v24, v139, v24
	v_add_f32_e32 v16, v114, v16
	s_delay_alu instid0(VALU_DEP_4) | instskip(SKIP_1) | instid1(VALU_DEP_4)
	v_fmamk_f32 v114, v135, 0x3f116cb1, v140
	v_fma_f32 v139, 0x3f116cb1, v135, -v140
	v_dual_add_f32 v140, v113, v23 :: v_dual_mul_f32 v113, 0x3eedf032, v136
	s_delay_alu instid0(VALU_DEP_3) | instskip(NEXT) | instid1(VALU_DEP_3)
	v_dual_add_f32 v27, v114, v27 :: v_dual_mul_f32 v114, 0x3e750f2a, v137
	v_add_f32_e32 v25, v139, v25
	s_delay_alu instid0(VALU_DEP_2) | instskip(SKIP_1) | instid1(VALU_DEP_2)
	v_dual_fmamk_f32 v139, v135, 0xbf788fa5, v114 :: v_dual_add_f32 v22, v138, v22
	v_mul_f32_e32 v138, 0x3e750f2a, v136
	v_add_f32_e32 v52, v139, v52
	s_delay_alu instid0(VALU_DEP_2) | instskip(SKIP_1) | instid1(VALU_DEP_2)
	v_fma_f32 v23, 0xbf788fa5, v134, -v138
	v_fmac_f32_e32 v138, 0xbf788fa5, v134
	v_add_f32_e32 v34, v23, v34
	v_fma_f32 v23, 0xbf788fa5, v135, -v114
	v_fma_f32 v114, 0x3f62ad3f, v134, -v113
	v_fmac_f32_e32 v113, 0x3f62ad3f, v134
	s_delay_alu instid0(VALU_DEP_3) | instskip(NEXT) | instid1(VALU_DEP_3)
	v_add_f32_e32 v33, v23, v33
	v_add_f32_e32 v53, v114, v53
	v_dual_mul_f32 v114, 0xbf6f5d39, v137 :: v_dual_mul_f32 v23, 0xbf6f5d39, v136
	s_delay_alu instid0(VALU_DEP_1) | instskip(NEXT) | instid1(VALU_DEP_1)
	v_fmamk_f32 v139, v135, 0xbeb58ec6, v114
	v_add_f32_e32 v127, v139, v127
	v_add_f32_e32 v139, v10, v8
	;; [unrolled: 1-line block ×3, first 2 shown]
	v_mul_f32_e32 v138, 0x3eedf032, v137
	v_add_f32_e32 v26, v141, v26
	s_delay_alu instid0(VALU_DEP_2) | instskip(SKIP_1) | instid1(VALU_DEP_2)
	v_dual_add_f32 v141, v113, v35 :: v_dual_fmamk_f32 v136, v135, 0x3f62ad3f, v138
	v_fma_f32 v137, 0x3f62ad3f, v135, -v138
	v_dual_add_f32 v55, v136, v55 :: v_dual_mul_f32 v136, 0xbe750f2a, v142
	s_delay_alu instid0(VALU_DEP_2) | instskip(NEXT) | instid1(VALU_DEP_2)
	v_dual_add_f32 v54, v137, v54 :: v_dual_mul_f32 v137, 0xbe750f2a, v143
	v_fmamk_f32 v35, v139, 0xbf788fa5, v136
	v_fma_f32 v138, 0xbeb58ec6, v134, -v23
	v_fmac_f32_e32 v23, 0xbeb58ec6, v134
	s_delay_alu instid0(VALU_DEP_3) | instskip(NEXT) | instid1(VALU_DEP_3)
	v_add_f32_e32 v113, v35, v17
	v_add_f32_e32 v129, v138, v129
	;; [unrolled: 1-line block ×3, first 2 shown]
	s_delay_alu instid0(VALU_DEP_4) | instskip(SKIP_2) | instid1(VALU_DEP_4)
	v_dual_add_f32 v144, v23, v19 :: v_dual_mul_f32 v19, 0x3eedf032, v142
	v_fma_f32 v23, 0xbeb58ec6, v135, -v114
	v_mul_f32_e32 v35, 0xbf29c268, v142
	v_fmamk_f32 v17, v138, 0x3f62ad3f, v145
	v_fma_f32 v114, 0xbf788fa5, v138, -v137
	v_fma_f32 v146, 0x3f62ad3f, v139, -v19
	v_add_f32_e32 v147, v23, v21
	v_fmac_f32_e32 v19, 0x3f62ad3f, v139
	v_fma_f32 v23, 0x3f62ad3f, v138, -v145
	v_add_f32_e32 v21, v17, v24
	v_mul_f32_e32 v17, 0xbf29c268, v143
	v_fma_f32 v24, 0xbf3f9e67, v139, -v35
	v_dual_fmac_f32 v35, 0xbf3f9e67, v139 :: v_dual_add_f32 v114, v114, v18
	v_add_f32_e32 v18, v19, v22
	v_mul_f32_e32 v145, 0x3f52af12, v142
	v_dual_add_f32 v19, v23, v16 :: v_dual_fmamk_f32 v16, v138, 0xbf3f9e67, v17
	v_add_f32_e32 v22, v24, v26
	v_fma_f32 v17, 0xbf3f9e67, v138, -v17
	v_mul_f32_e32 v26, 0x3f52af12, v143
	v_fma_f32 v24, 0x3f116cb1, v139, -v145
	v_add_f32_e32 v23, v16, v27
	v_fmac_f32_e32 v145, 0x3f116cb1, v139
	v_add_f32_e32 v17, v17, v25
	v_dual_fmamk_f32 v25, v138, 0x3f116cb1, v26 :: v_dual_add_f32 v16, v35, v140
	v_dual_mul_f32 v140, 0xbf6f5d39, v142 :: v_dual_mul_f32 v27, 0xbf6f5d39, v143
	v_add_f32_e32 v20, v146, v20
	v_add_f32_e32 v24, v24, v34
	v_fma_f32 v26, 0x3f116cb1, v138, -v26
	s_delay_alu instid0(VALU_DEP_4) | instskip(SKIP_2) | instid1(VALU_DEP_4)
	v_fma_f32 v146, 0xbeb58ec6, v139, -v140
	v_add_f32_e32 v34, v145, v32
	v_fmamk_f32 v32, v138, 0xbeb58ec6, v27
	v_dual_fmac_f32 v140, 0xbeb58ec6, v139 :: v_dual_add_f32 v35, v26, v33
	s_delay_alu instid0(VALU_DEP_4) | instskip(SKIP_1) | instid1(VALU_DEP_4)
	v_add_f32_e32 v26, v146, v53
	v_fma_f32 v33, 0xbeb58ec6, v138, -v27
	v_add_f32_e32 v27, v32, v55
	v_mul_f32_e32 v55, 0x3f7e222b, v142
	v_dual_add_f32 v25, v25, v52 :: v_dual_mul_f32 v52, 0x3f7e222b, v143
	v_mul_lo_u16 v53, v124, 13
	v_dual_add_f32 v32, v140, v141 :: v_dual_add_f32 v33, v33, v54
	s_delay_alu instid0(VALU_DEP_4) | instskip(NEXT) | instid1(VALU_DEP_4)
	v_fma_f32 v54, 0x3df6dbef, v139, -v55
	v_dual_fmamk_f32 v140, v138, 0x3df6dbef, v52 :: v_dual_fmac_f32 v55, 0x3df6dbef, v139
	v_fma_f32 v141, 0x3df6dbef, v138, -v52
	v_and_b32_e32 v142, 0xffff, v53
	s_delay_alu instid0(VALU_DEP_3) | instskip(NEXT) | instid1(VALU_DEP_3)
	v_dual_add_f32 v52, v54, v129 :: v_dual_add_f32 v53, v140, v127
	v_dual_add_f32 v54, v55, v144 :: v_dual_add_f32 v55, v141, v147
	s_delay_alu instid0(VALU_DEP_3)
	v_lshl_add_u32 v129, v142, 3, v125
	v_mul_u32_u24_e32 v127, 13, v73
	ds_store_2addr_b64 v129, v[46:47], v[44:45] offset1:1
	ds_store_2addr_b64 v129, v[50:51], v[58:59] offset0:2 offset1:3
	ds_store_2addr_b64 v129, v[60:61], v[64:65] offset0:4 offset1:5
	;; [unrolled: 1-line block ×5, first 2 shown]
	ds_store_b64 v129, v[40:41] offset:96
	s_and_saveexec_b32 s0, vcc_lo
	s_cbranch_execz .LBB0_7
; %bb.6:
	v_dual_add_f32 v3, v3, v1 :: v_dual_add_f32 v2, v2, v0
	v_dual_mul_f32 v40, 0x3f62ad3f, v76 :: v_dual_mul_f32 v41, 0x3f62ad3f, v77
	v_dual_mul_f32 v42, 0x3f116cb1, v80 :: v_dual_mul_f32 v43, 0x3f116cb1, v81
	s_delay_alu instid0(VALU_DEP_3) | instskip(SKIP_3) | instid1(VALU_DEP_4)
	v_dual_add_f32 v3, v37, v3 :: v_dual_add_f32 v2, v36, v2
	v_mul_f32_e32 v36, 0xbeb58ec6, v130
	v_mul_f32_e32 v47, 0xbf3f9e67, v135
	;; [unrolled: 1-line block ×3, first 2 shown]
	v_add_f32_e32 v3, v39, v3
	v_dual_add_f32 v39, v75, v41 :: v_dual_add_f32 v2, v38, v2
	v_dual_mul_f32 v44, 0x3df6dbef, v115 :: v_dual_mul_f32 v45, 0x3df6dbef, v116
	s_delay_alu instid0(VALU_DEP_3) | instskip(NEXT) | instid1(VALU_DEP_3)
	v_add_f32_e32 v3, v29, v3
	v_dual_add_f32 v1, v39, v1 :: v_dual_add_f32 v2, v28, v2
	v_dual_sub_f32 v28, v40, v74 :: v_dual_add_f32 v29, v79, v43
	s_delay_alu instid0(VALU_DEP_3) | instskip(SKIP_1) | instid1(VALU_DEP_4)
	v_add_f32_e32 v3, v31, v3
	v_mul_f32_e32 v37, 0xbf3f9e67, v134
	v_add_f32_e32 v2, v30, v2
	s_delay_alu instid0(VALU_DEP_4) | instskip(SKIP_1) | instid1(VALU_DEP_3)
	v_add_f32_e32 v0, v28, v0
	v_dual_sub_f32 v28, v42, v78 :: v_dual_add_f32 v1, v29, v1
	v_dual_add_f32 v3, v9, v3 :: v_dual_add_f32 v2, v8, v2
	v_add_f32_e32 v8, v83, v45
	s_delay_alu instid0(VALU_DEP_3) | instskip(SKIP_1) | instid1(VALU_DEP_4)
	v_add_f32_e32 v0, v28, v0
	v_sub_f32_e32 v9, v44, v82
	v_dual_add_f32 v3, v11, v3 :: v_dual_add_f32 v2, v10, v2
	s_delay_alu instid0(VALU_DEP_4) | instskip(SKIP_2) | instid1(VALU_DEP_4)
	v_add_f32_e32 v1, v8, v1
	v_add_f32_e32 v8, v128, v36
	v_dual_mul_f32 v38, 0xbf788fa5, v139 :: v_dual_mul_f32 v41, 0xbf788fa5, v138
	v_dual_add_f32 v3, v5, v3 :: v_dual_add_f32 v2, v4, v2
	v_add_f32_e32 v5, v133, v47
	s_delay_alu instid0(VALU_DEP_4) | instskip(NEXT) | instid1(VALU_DEP_3)
	v_dual_add_f32 v0, v9, v0 :: v_dual_add_f32 v1, v8, v1
	v_dual_sub_f32 v4, v46, v126 :: v_dual_add_f32 v3, v7, v3
	s_delay_alu instid0(VALU_DEP_2) | instskip(NEXT) | instid1(VALU_DEP_2)
	v_dual_add_f32 v2, v6, v2 :: v_dual_add_f32 v1, v5, v1
	v_dual_add_f32 v0, v4, v0 :: v_dual_add_f32 v3, v13, v3
	v_sub_f32_e32 v4, v37, v132
	s_delay_alu instid0(VALU_DEP_3) | instskip(NEXT) | instid1(VALU_DEP_2)
	v_dual_add_f32 v2, v12, v2 :: v_dual_add_f32 v5, v137, v41
	v_dual_add_f32 v3, v15, v3 :: v_dual_add_f32 v0, v4, v0
	s_delay_alu instid0(VALU_DEP_2) | instskip(NEXT) | instid1(VALU_DEP_2)
	v_dual_sub_f32 v4, v38, v136 :: v_dual_add_f32 v1, v5, v1
	v_dual_add_f32 v2, v14, v2 :: v_dual_add_f32 v3, v49, v3
	s_delay_alu instid0(VALU_DEP_2) | instskip(SKIP_1) | instid1(VALU_DEP_3)
	v_add_f32_e32 v0, v4, v0
	v_lshl_add_u32 v4, v127, 3, v125
	v_add_f32_e32 v2, v48, v2
	ds_store_2addr_b64 v4, v[2:3], v[0:1] offset1:1
	ds_store_2addr_b64 v4, v[20:21], v[22:23] offset0:2 offset1:3
	ds_store_2addr_b64 v4, v[24:25], v[26:27] offset0:4 offset1:5
	;; [unrolled: 1-line block ×5, first 2 shown]
	ds_store_b64 v4, v[113:114] offset:96
.LBB0_7:
	s_wait_alu 0xfffe
	s_or_b32 exec_lo, exec_lo, s0
	v_lshlrev_b32_e32 v68, 5, v124
	v_add_co_u32 v56, null, v124, 26
	global_wb scope:SCOPE_SE
	s_wait_dscnt 0x0
	s_barrier_signal -1
	s_barrier_wait -1
	global_inv scope:SCOPE_SE
	s_clause 0x1
	global_load_b128 v[8:11], v68, s[2:3]
	global_load_b128 v[0:3], v68, s[2:3] offset:16
	v_and_b32_e32 v4, 0xff, v56
	v_add_co_u32 v68, s0, s2, v68
	s_wait_alu 0xf1ff
	v_add_co_ci_u32_e64 v71, null, s3, 0, s0
	s_delay_alu instid0(VALU_DEP_3) | instskip(NEXT) | instid1(VALU_DEP_1)
	v_mul_lo_u16 v4, 0x4f, v4
	v_lshrrev_b16 v4, 10, v4
	s_delay_alu instid0(VALU_DEP_1) | instskip(NEXT) | instid1(VALU_DEP_1)
	v_mul_lo_u16 v4, v4, 13
	v_sub_nc_u16 v69, v56, v4
	s_delay_alu instid0(VALU_DEP_1) | instskip(NEXT) | instid1(VALU_DEP_1)
	v_lshlrev_b16 v4, 2, v69
	v_and_b32_e32 v4, 0xfc, v4
	s_delay_alu instid0(VALU_DEP_1)
	v_lshlrev_b32_e32 v4, 3, v4
	s_clause 0x1
	global_load_b128 v[12:15], v4, s[2:3]
	global_load_b128 v[4:7], v4, s[2:3] offset:16
	ds_load_2addr_b64 v[36:39], v117 offset1:13
	ds_load_2addr_b64 v[28:31], v117 offset0:26 offset1:39
	ds_load_2addr_b64 v[48:51], v117 offset0:78 offset1:91
	;; [unrolled: 1-line block ×6, first 2 shown]
	ds_load_b64 v[66:67], v117 offset:1456
	v_lshlrev_b32_e32 v57, 4, v124
	v_lshlrev_b32_e32 v70, 4, v73
	v_and_b32_e32 v73, 0xff, v69
	global_wb scope:SCOPE_SE
	s_wait_loadcnt_dscnt 0x0
	s_barrier_signal -1
	s_barrier_wait -1
	global_inv scope:SCOPE_SE
	v_mul_f32_e32 v74, v49, v11
	v_mul_f32_e32 v78, v59, v3
	v_sub_co_u32 v68, s0, v68, v57
	s_wait_alu 0xf1ff
	v_subrev_co_ci_u32_e64 v69, s0, 0, v71, s0
	v_lshl_add_u32 v128, v73, 3, v125
	v_mul_f32_e32 v71, v31, v9
	v_mul_f32_e32 v73, v30, v9
	v_dual_mul_f32 v75, v48, v11 :: v_dual_mul_f32 v76, v43, v1
	v_mul_f32_e32 v83, v50, v11
	v_mul_f32_e32 v77, v42, v1
	v_dual_mul_f32 v79, v58, v3 :: v_dual_mul_f32 v80, v63, v9
	s_delay_alu instid0(VALU_DEP_4)
	v_fmac_f32_e32 v75, v49, v10
	v_dual_mul_f32 v81, v62, v9 :: v_dual_mul_f32 v82, v51, v11
	v_dual_mul_f32 v115, v45, v1 :: v_dual_mul_f32 v130, v60, v3
	v_dual_mul_f32 v116, v44, v1 :: v_dual_fmac_f32 v73, v31, v8
	v_dual_mul_f32 v126, v61, v3 :: v_dual_fmac_f32 v77, v43, v0
	v_fma_f32 v30, v30, v8, -v71
	v_fma_f32 v31, v48, v10, -v74
	;; [unrolled: 1-line block ×4, first 2 shown]
	v_dual_fmac_f32 v79, v59, v2 :: v_dual_fmac_f32 v116, v45, v0
	v_fma_f32 v42, v62, v8, -v80
	v_dual_fmac_f32 v81, v63, v8 :: v_dual_fmac_f32 v130, v61, v2
	v_fma_f32 v43, v50, v10, -v82
	v_dual_fmac_f32 v83, v51, v10 :: v_dual_add_f32 v58, v30, v71
	v_fma_f32 v50, v44, v0, -v115
	v_fma_f32 v62, v60, v2, -v126
	v_dual_add_f32 v44, v36, v30 :: v_dual_add_f32 v45, v31, v48
	v_dual_sub_f32 v61, v73, v79 :: v_dual_add_f32 v76, v75, v77
	v_dual_sub_f32 v49, v30, v31 :: v_dual_add_f32 v74, v37, v73
	;; [unrolled: 1-line block ×3, first 2 shown]
	v_dual_sub_f32 v63, v75, v77 :: v_dual_sub_f32 v60, v48, v71
	v_dual_sub_f32 v51, v71, v48 :: v_dual_sub_f32 v78, v30, v71
	;; [unrolled: 1-line block ×4, first 2 shown]
	v_dual_sub_f32 v73, v75, v73 :: v_dual_add_f32 v132, v38, v42
	v_dual_add_f32 v133, v43, v50 :: v_dual_sub_f32 v136, v42, v43
	v_dual_sub_f32 v134, v81, v130 :: v_dual_sub_f32 v135, v83, v116
	v_dual_sub_f32 v137, v62, v50 :: v_dual_add_f32 v142, v83, v116
	v_dual_add_f32 v138, v42, v62 :: v_dual_add_f32 v141, v39, v81
	v_dual_sub_f32 v139, v43, v42 :: v_dual_sub_f32 v146, v130, v116
	v_dual_sub_f32 v140, v50, v62 :: v_dual_sub_f32 v145, v81, v83
	v_dual_sub_f32 v143, v42, v62 :: v_dual_add_f32 v44, v44, v31
	v_dual_add_f32 v147, v81, v130 :: v_dual_add_f32 v150, v59, v60
	v_dual_sub_f32 v81, v83, v81 :: v_dual_sub_f32 v148, v116, v130
	v_fma_f32 v30, -0.5, v45, v36
	v_fma_f32 v36, -0.5, v58, v36
	v_add_f32_e32 v45, v74, v75
	v_fma_f32 v31, -0.5, v76, v37
	v_add_f32_e32 v76, v139, v140
	v_fma_f32 v37, -0.5, v126, v37
	v_dual_sub_f32 v144, v43, v50 :: v_dual_add_f32 v149, v49, v51
	v_dual_add_f32 v73, v73, v131 :: v_dual_add_f32 v60, v44, v48
	v_add_f32_e32 v51, v132, v43
	v_fma_f32 v42, -0.5, v133, v38
	v_add_f32_e32 v59, v141, v83
	v_fma_f32 v43, -0.5, v142, v39
	v_dual_fmac_f32 v39, -0.5, v147 :: v_dual_fmamk_f32 v44, v61, 0x3f737871, v30
	v_dual_add_f32 v81, v81, v148 :: v_dual_fmamk_f32 v48, v63, 0xbf737871, v36
	v_fmac_f32_e32 v30, 0xbf737871, v61
	v_dual_fmac_f32 v36, 0x3f737871, v63 :: v_dual_add_f32 v77, v45, v77
	v_fmamk_f32 v45, v78, 0xbf737871, v31
	v_fma_f32 v38, -0.5, v138, v38
	v_fmamk_f32 v49, v80, 0x3f737871, v37
	v_fmac_f32_e32 v37, 0xbf737871, v80
	v_dual_fmac_f32 v31, 0x3f737871, v78 :: v_dual_add_f32 v74, v82, v115
	v_dual_add_f32 v75, v136, v137 :: v_dual_add_f32 v82, v145, v146
	v_dual_add_f32 v83, v51, v50 :: v_dual_add_f32 v60, v60, v71
	v_fmamk_f32 v50, v134, 0x3f737871, v42
	v_dual_fmac_f32 v42, 0xbf737871, v134 :: v_dual_add_f32 v115, v59, v116
	v_fmac_f32_e32 v44, 0x3f167918, v63
	v_dual_fmac_f32 v30, 0xbf167918, v63 :: v_dual_fmac_f32 v45, 0xbf167918, v80
	v_fmamk_f32 v58, v135, 0xbf737871, v38
	v_fmac_f32_e32 v38, 0x3f737871, v135
	v_fmac_f32_e32 v48, 0x3f167918, v61
	v_dual_fmac_f32 v36, 0xbf167918, v61 :: v_dual_fmac_f32 v49, 0xbf167918, v78
	v_fmac_f32_e32 v37, 0x3f167918, v78
	v_dual_fmac_f32 v31, 0x3f167918, v80 :: v_dual_fmac_f32 v50, 0x3f167918, v135
	v_dual_add_f32 v61, v77, v79 :: v_dual_fmac_f32 v44, 0x3e9e377a, v149
	v_fmac_f32_e32 v45, 0x3e9e377a, v74
	v_dual_fmac_f32 v48, 0x3e9e377a, v150 :: v_dual_fmac_f32 v49, 0x3e9e377a, v73
	v_dual_fmac_f32 v36, 0x3e9e377a, v150 :: v_dual_fmac_f32 v37, 0x3e9e377a, v73
	v_fmamk_f32 v51, v143, 0xbf737871, v43
	v_dual_fmac_f32 v43, 0x3f737871, v143 :: v_dual_add_f32 v62, v83, v62
	v_dual_fmac_f32 v42, 0xbf167918, v135 :: v_dual_add_f32 v63, v115, v130
	v_dual_fmac_f32 v30, 0x3e9e377a, v149 :: v_dual_fmac_f32 v31, 0x3e9e377a, v74
	v_fmamk_f32 v59, v144, 0x3f737871, v39
	v_fmac_f32_e32 v39, 0xbf737871, v144
	ds_store_2addr_b64 v117, v[60:61], v[44:45] offset1:13
	ds_store_2addr_b64 v117, v[48:49], v[36:37] offset0:26 offset1:39
	ds_store_2addr_b64 v117, v[30:31], v[62:63] offset0:52 offset1:65
	v_mul_f32_e32 v44, v47, v5
	v_mul_f32_e32 v30, v65, v13
	;; [unrolled: 1-line block ×4, first 2 shown]
	v_dual_fmac_f32 v58, 0x3f167918, v134 :: v_dual_fmac_f32 v43, 0x3f167918, v144
	s_delay_alu instid0(VALU_DEP_4)
	v_fma_f32 v30, v64, v12, -v30
	v_mul_f32_e32 v37, v40, v15
	v_fma_f32 v36, v40, v14, -v36
	v_fma_f32 v40, v46, v4, -v44
	v_fma_f32 v44, v66, v6, -v48
	v_mul_f32_e32 v45, v46, v5
	s_delay_alu instid0(VALU_DEP_4) | instskip(NEXT) | instid1(VALU_DEP_3)
	v_dual_mul_f32 v31, v64, v13 :: v_dual_sub_f32 v60, v30, v36
	v_dual_sub_f32 v63, v36, v30 :: v_dual_add_f32 v62, v30, v44
	v_dual_sub_f32 v64, v40, v44 :: v_dual_fmac_f32 v37, v41, v14
	s_delay_alu instid0(VALU_DEP_4)
	v_fmac_f32_e32 v45, v47, v4
	v_dual_mul_f32 v49, v66, v7 :: v_dual_fmac_f32 v38, 0xbf167918, v134
	v_fmac_f32_e32 v51, 0xbf167918, v144
	v_dual_fmac_f32 v59, 0xbf167918, v143 :: v_dual_add_f32 v46, v36, v40
	v_sub_f32_e32 v61, v44, v40
	v_fmac_f32_e32 v31, v65, v12
	v_dual_add_f32 v66, v37, v45 :: v_dual_fmac_f32 v49, v67, v6
	s_delay_alu instid0(VALU_DEP_4)
	v_dual_fmac_f32 v58, 0x3e9e377a, v76 :: v_dual_fmac_f32 v59, 0x3e9e377a, v81
	v_add_f32_e32 v41, v28, v30
	v_sub_f32_e32 v67, v30, v44
	v_fma_f32 v30, -0.5, v46, v28
	v_add_f32_e32 v46, v60, v61
	v_dual_add_f32 v60, v63, v64 :: v_dual_fmac_f32 v39, 0x3f167918, v143
	v_sub_f32_e32 v48, v37, v45
	v_fmac_f32_e32 v38, 0x3e9e377a, v76
	v_sub_f32_e32 v76, v37, v31
	v_sub_f32_e32 v77, v45, v49
	v_fma_f32 v28, -0.5, v62, v28
	v_add_f32_e32 v65, v29, v31
	v_dual_fmac_f32 v50, 0x3e9e377a, v75 :: v_dual_fmac_f32 v51, 0x3e9e377a, v82
	s_delay_alu instid0(VALU_DEP_4)
	v_add_f32_e32 v62, v76, v77
	v_sub_f32_e32 v74, v49, v45
	v_sub_f32_e32 v47, v31, v49
	v_sub_f32_e32 v71, v36, v40
	v_add_f32_e32 v36, v41, v36
	v_dual_fmac_f32 v42, 0x3e9e377a, v75 :: v_dual_fmac_f32 v43, 0x3e9e377a, v82
	v_sub_f32_e32 v73, v31, v37
	v_fmac_f32_e32 v39, 0x3e9e377a, v81
	s_delay_alu instid0(VALU_DEP_4)
	v_dual_add_f32 v63, v36, v40 :: v_dual_fmamk_f32 v36, v47, 0x3f737871, v30
	v_add_f32_e32 v75, v31, v49
	v_fma_f32 v31, -0.5, v66, v29
	v_fmac_f32_e32 v30, 0xbf737871, v47
	v_fmamk_f32 v40, v48, 0xbf737871, v28
	v_dual_fmac_f32 v36, 0x3f167918, v48 :: v_dual_add_f32 v37, v65, v37
	v_fmac_f32_e32 v28, 0x3f737871, v48
	s_delay_alu instid0(VALU_DEP_4) | instskip(NEXT) | instid1(VALU_DEP_3)
	v_dual_fmac_f32 v30, 0xbf167918, v48 :: v_dual_fmac_f32 v29, -0.5, v75
	v_fmac_f32_e32 v36, 0x3e9e377a, v46
	v_fmac_f32_e32 v40, 0x3f167918, v47
	s_delay_alu instid0(VALU_DEP_4)
	v_dual_fmac_f32 v28, 0xbf167918, v47 :: v_dual_add_f32 v45, v37, v45
	v_fmamk_f32 v37, v67, 0xbf737871, v31
	v_fmamk_f32 v41, v71, 0x3f737871, v29
	v_fmac_f32_e32 v29, 0xbf737871, v71
	v_fmac_f32_e32 v31, 0x3f737871, v67
	v_dual_add_f32 v61, v73, v74 :: v_dual_fmac_f32 v40, 0x3e9e377a, v60
	v_fmac_f32_e32 v37, 0xbf167918, v71
	v_fmac_f32_e32 v41, 0xbf167918, v67
	;; [unrolled: 1-line block ×5, first 2 shown]
	v_add_f32_e32 v44, v63, v44
	v_dual_fmac_f32 v28, 0x3e9e377a, v60 :: v_dual_add_f32 v45, v45, v49
	v_fmac_f32_e32 v37, 0x3e9e377a, v61
	v_fmac_f32_e32 v41, 0x3e9e377a, v62
	v_fmac_f32_e32 v29, 0x3e9e377a, v62
	v_fmac_f32_e32 v31, 0x3e9e377a, v61
	ds_store_2addr_b64 v117, v[50:51], v[58:59] offset0:78 offset1:91
	ds_store_2addr_b64 v117, v[38:39], v[42:43] offset0:104 offset1:117
	;; [unrolled: 1-line block ×4, first 2 shown]
	ds_store_b64 v128, v[30:31] offset:1456
	v_lshlrev_b32_e32 v28, 4, v56
	v_add_nc_u32_e32 v29, 0x270, v57
	global_wb scope:SCOPE_SE
	s_wait_dscnt 0x0
	s_barrier_signal -1
	s_barrier_wait -1
	global_inv scope:SCOPE_SE
	s_clause 0x2
	global_load_b128 v[48:51], v[68:69], off offset:416
	global_load_b128 v[44:47], v70, s[2:3] offset:416
	global_load_b128 v[40:43], v28, s[2:3] offset:416
	v_add_nc_u32_e32 v28, 0x340, v57
	s_clause 0x1
	global_load_b128 v[36:39], v29, s[2:3] offset:416
	global_load_b128 v[28:31], v28, s[2:3] offset:416
	ds_load_2addr_b64 v[58:61], v117 offset0:52 offset1:65
	ds_load_2addr_b64 v[62:65], v117 offset0:130 offset1:143
	;; [unrolled: 1-line block ×5, first 2 shown]
	ds_load_2addr_b64 v[130:133], v117 offset1:13
	ds_load_b64 v[56:57], v117 offset:1456
	ds_load_2addr_b64 v[134:137], v117 offset0:26 offset1:39
	v_lshl_add_u32 v126, v124, 3, v125
	s_add_nc_u64 s[0:1], s[12:13], 0x618
	s_wait_loadcnt_dscnt 0x406
	v_dual_mul_f32 v81, v63, v51 :: v_dual_mul_f32 v70, v61, v49
	v_mul_f32_e32 v82, v62, v51
	s_wait_loadcnt_dscnt 0x204
	v_dual_mul_f32 v142, v73, v43 :: v_dual_mul_f32 v71, v60, v49
	v_mul_f32_e32 v116, v65, v47
	v_mul_f32_e32 v138, v64, v47
	s_wait_loadcnt_dscnt 0x3
	v_mul_f32_e32 v148, v79, v29
	v_dual_fmac_f32 v142, v74, v42 :: v_dual_mul_f32 v139, v69, v41
	v_mul_f32_e32 v140, v68, v41
	v_mul_f32_e32 v144, v77, v37
	s_delay_alu instid0(VALU_DEP_4)
	v_dual_fmac_f32 v148, v80, v28 :: v_dual_mul_f32 v83, v67, v45
	v_dual_mul_f32 v146, v75, v39 :: v_dual_mul_f32 v115, v66, v45
	s_wait_dscnt 0x1
	v_mul_f32_e32 v150, v56, v31
	v_mul_f32_e32 v141, v74, v43
	v_fma_f32 v60, v60, v48, -v70
	v_fmac_f32_e32 v82, v63, v50
	v_fma_f32 v63, v68, v40, -v139
	v_fmac_f32_e32 v150, v57, v30
	v_fmac_f32_e32 v71, v61, v48
	v_fma_f32 v61, v62, v50, -v81
	v_mul_f32_e32 v143, v78, v37
	v_mul_f32_e32 v149, v57, v31
	v_fma_f32 v64, v64, v46, -v116
	v_fmac_f32_e32 v138, v65, v46
	v_add_f32_e32 v68, v60, v61
	v_fmac_f32_e32 v140, v69, v40
	v_fmac_f32_e32 v144, v78, v36
	v_fma_f32 v62, v66, v44, -v83
	v_mul_f32_e32 v145, v76, v39
	v_fma_f32 v66, v73, v42, -v141
	v_dual_fmac_f32 v146, v76, v38 :: v_dual_fmac_f32 v115, v67, v44
	v_mul_f32_e32 v147, v80, v29
	v_fma_f32 v56, v56, v30, -v149
	v_add_f32_e32 v57, v130, v60
	s_wait_dscnt 0x0
	v_dual_add_f32 v73, v132, v62 :: v_dual_add_f32 v116, v135, v140
	v_add_f32_e32 v74, v62, v64
	v_fma_f32 v70, v75, v38, -v145
	v_sub_f32_e32 v78, v115, v138
	v_fma_f32 v67, v79, v28, -v147
	v_dual_sub_f32 v80, v62, v64 :: v_dual_sub_f32 v145, v144, v146
	v_dual_add_f32 v147, v137, v144 :: v_dual_add_f32 v144, v144, v146
	v_dual_add_f32 v75, v133, v115 :: v_dual_add_f32 v154, v59, v148
	;; [unrolled: 1-line block ×3, first 2 shown]
	v_sub_f32_e32 v115, v140, v142
	v_add_f32_e32 v139, v140, v142
	v_sub_f32_e32 v140, v63, v66
	v_sub_f32_e32 v76, v71, v82
	v_fma_f32 v65, v77, v36, -v143
	v_add_f32_e32 v69, v131, v71
	v_sub_f32_e32 v153, v148, v150
	v_add_f32_e32 v148, v148, v150
	v_add_f32_e32 v71, v71, v82
	v_fma_f32 v62, -0.5, v68, v130
	v_add_f32_e32 v83, v63, v66
	v_dual_sub_f32 v77, v60, v61 :: v_dual_add_f32 v152, v67, v56
	v_add_f32_e32 v141, v136, v65
	v_add_f32_e32 v81, v134, v63
	v_sub_f32_e32 v149, v65, v70
	v_add_f32_e32 v60, v57, v61
	v_fma_f32 v63, -0.5, v71, v131
	v_fma_f32 v132, -0.5, v74, v132
	v_fmac_f32_e32 v133, -0.5, v79
	v_add_f32_e32 v143, v65, v70
	v_add_f32_e32 v65, v75, v138
	v_fmamk_f32 v75, v76, 0x3f5db3d7, v62
	v_fmac_f32_e32 v62, 0xbf5db3d7, v76
	v_fma_f32 v68, -0.5, v83, v134
	v_add_f32_e32 v151, v58, v67
	v_fmac_f32_e32 v137, -0.5, v144
	v_fma_f32 v58, -0.5, v152, v58
	v_add_f32_e32 v61, v69, v82
	v_fmamk_f32 v76, v77, 0xbf5db3d7, v63
	v_fmac_f32_e32 v63, 0x3f5db3d7, v77
	v_fmamk_f32 v77, v78, 0x3f5db3d7, v132
	v_fmac_f32_e32 v132, 0xbf5db3d7, v78
	v_fmamk_f32 v78, v80, 0xbf5db3d7, v133
	v_fma_f32 v136, -0.5, v143, v136
	v_fmamk_f32 v79, v115, 0x3f5db3d7, v68
	v_fmac_f32_e32 v68, 0xbf5db3d7, v115
	v_fma_f32 v69, -0.5, v139, v135
	v_add_f32_e32 v70, v141, v70
	v_dual_add_f32 v66, v81, v66 :: v_dual_fmac_f32 v59, -0.5, v148
	v_fmac_f32_e32 v133, 0x3f5db3d7, v80
	s_delay_alu instid0(VALU_DEP_4)
	v_fmamk_f32 v80, v140, 0xbf5db3d7, v69
	v_fmamk_f32 v82, v149, 0xbf5db3d7, v137
	;; [unrolled: 1-line block ×3, first 2 shown]
	v_dual_fmac_f32 v136, 0xbf5db3d7, v145 :: v_dual_sub_f32 v155, v67, v56
	v_add_f32_e32 v67, v116, v142
	v_dual_add_f32 v73, v151, v56 :: v_dual_add_f32 v74, v154, v150
	v_add_f32_e32 v71, v147, v146
	v_fmac_f32_e32 v137, 0x3f5db3d7, v149
	v_dual_fmac_f32 v69, 0x3f5db3d7, v140 :: v_dual_fmamk_f32 v56, v153, 0x3f5db3d7, v58
	v_dual_fmac_f32 v58, 0xbf5db3d7, v153 :: v_dual_fmamk_f32 v57, v155, 0xbf5db3d7, v59
	v_fmac_f32_e32 v59, 0x3f5db3d7, v155
	ds_store_b64 v117, v[60:61]
	ds_store_2addr_b64 v126, v[64:65], v[66:67] offset0:13 offset1:26
	ds_store_2addr_b64 v126, v[70:71], v[73:74] offset0:39 offset1:52
	;; [unrolled: 1-line block ×7, first 2 shown]
	global_wb scope:SCOPE_SE
	s_wait_dscnt 0x0
	s_barrier_signal -1
	s_barrier_wait -1
	global_inv scope:SCOPE_SE
	s_clause 0xc
	global_load_b64 v[81:82], v[84:85], off offset:1560
	global_load_b64 v[115:116], v72, s[0:1] offset:120
	global_load_b64 v[134:135], v72, s[0:1] offset:240
	global_load_b64 v[136:137], v72, s[0:1] offset:360
	global_load_b64 v[138:139], v72, s[0:1] offset:480
	global_load_b64 v[140:141], v72, s[0:1] offset:600
	global_load_b64 v[142:143], v72, s[0:1] offset:720
	global_load_b64 v[144:145], v72, s[0:1] offset:840
	global_load_b64 v[146:147], v72, s[0:1] offset:960
	global_load_b64 v[148:149], v72, s[0:1] offset:1080
	global_load_b64 v[150:151], v72, s[0:1] offset:1200
	global_load_b64 v[152:153], v72, s[0:1] offset:1320
	global_load_b64 v[154:155], v72, s[0:1] offset:1440
	ds_load_2addr_b64 v[60:63], v117 offset1:15
	ds_load_2addr_b64 v[64:67], v117 offset0:30 offset1:45
	ds_load_2addr_b64 v[68:71], v117 offset0:60 offset1:75
	;; [unrolled: 1-line block ×5, first 2 shown]
	ds_load_b64 v[156:157], v117 offset:1440
	s_wait_loadcnt_dscnt 0xc06
	v_mul_f32_e32 v158, v61, v82
	s_wait_loadcnt 0xb
	v_dual_mul_f32 v83, v60, v82 :: v_dual_mul_f32 v160, v63, v116
	v_mul_f32_e32 v159, v62, v116
	s_wait_loadcnt_dscnt 0xa05
	v_mul_f32_e32 v161, v65, v135
	v_mul_f32_e32 v116, v64, v135
	s_wait_loadcnt 0x9
	v_mul_f32_e32 v162, v67, v137
	s_wait_loadcnt_dscnt 0x503
	v_mul_f32_e32 v166, v76, v145
	v_mul_f32_e32 v135, v66, v137
	;; [unrolled: 1-line block ×3, first 2 shown]
	v_dual_mul_f32 v137, v68, v139 :: v_dual_mul_f32 v164, v71, v141
	v_mul_f32_e32 v139, v70, v141
	v_mul_f32_e32 v165, v74, v143
	;; [unrolled: 1-line block ×4, first 2 shown]
	s_wait_loadcnt_dscnt 0x402
	v_mul_f32_e32 v167, v78, v147
	s_wait_loadcnt 0x3
	v_dual_mul_f32 v145, v77, v147 :: v_dual_mul_f32 v168, v80, v149
	v_mul_f32_e32 v147, v79, v149
	s_wait_loadcnt_dscnt 0x201
	v_mul_f32_e32 v169, v131, v151
	s_wait_loadcnt 0x1
	v_dual_mul_f32 v149, v130, v151 :: v_dual_mul_f32 v170, v133, v153
	v_mul_f32_e32 v151, v132, v153
	s_wait_loadcnt_dscnt 0x0
	v_mul_f32_e32 v171, v157, v155
	v_mul_f32_e32 v153, v156, v155
	v_fma_f32 v82, v60, v81, -v158
	v_fmac_f32_e32 v83, v61, v81
	v_fma_f32 v158, v62, v115, -v160
	v_fmac_f32_e32 v159, v63, v115
	;; [unrolled: 2-line block ×13, first 2 shown]
	ds_store_2addr_b64 v117, v[82:83], v[158:159] offset1:15
	ds_store_2addr_b64 v117, v[115:116], v[134:135] offset0:30 offset1:45
	ds_store_2addr_b64 v117, v[136:137], v[138:139] offset0:60 offset1:75
	;; [unrolled: 1-line block ×5, first 2 shown]
	ds_store_b64 v117, v[152:153] offset:1440
	s_and_saveexec_b32 s2, vcc_lo
	s_cbranch_execz .LBB0_9
; %bb.8:
	s_wait_alu 0xfffe
	v_add_co_u32 v60, s0, s0, v72
	s_wait_alu 0xf1ff
	v_add_co_ci_u32_e64 v61, null, s1, 0, s0
	s_clause 0xc
	global_load_b64 v[62:63], v[60:61], off offset:104
	global_load_b64 v[115:116], v[60:61], off offset:224
	;; [unrolled: 1-line block ×13, first 2 shown]
	ds_load_b64 v[60:61], v126 offset:104
	s_wait_loadcnt_dscnt 0xc00
	v_mul_f32_e32 v65, v61, v63
	v_mul_f32_e32 v64, v60, v63
	s_delay_alu instid0(VALU_DEP_2) | instskip(NEXT) | instid1(VALU_DEP_2)
	v_fma_f32 v63, v60, v62, -v65
	v_fmac_f32_e32 v64, v61, v62
	ds_store_b64 v126, v[63:64] offset:104
	ds_load_2addr_b64 v[60:63], v117 offset0:28 offset1:43
	ds_load_2addr_b64 v[64:67], v117 offset0:58 offset1:73
	;; [unrolled: 1-line block ×6, first 2 shown]
	s_wait_loadcnt_dscnt 0xb05
	v_mul_f32_e32 v153, v61, v116
	v_mul_f32_e32 v152, v60, v116
	s_wait_loadcnt_dscnt 0x904
	v_dual_mul_f32 v154, v63, v131 :: v_dual_mul_f32 v155, v65, v133
	v_dual_mul_f32 v116, v62, v131 :: v_dual_mul_f32 v131, v64, v133
	s_wait_loadcnt_dscnt 0x703
	v_dual_mul_f32 v156, v67, v135 :: v_dual_mul_f32 v157, v69, v137
	v_mul_f32_e32 v133, v66, v135
	s_wait_loadcnt 0x6
	v_dual_mul_f32 v135, v68, v137 :: v_dual_mul_f32 v158, v71, v139
	v_dual_mul_f32 v137, v70, v139 :: v_dual_fmac_f32 v116, v63, v130
	s_wait_loadcnt_dscnt 0x402
	v_dual_mul_f32 v159, v73, v141 :: v_dual_mul_f32 v160, v75, v143
	s_wait_loadcnt_dscnt 0x201
	v_dual_mul_f32 v139, v72, v141 :: v_dual_mul_f32 v162, v79, v147
	v_mul_f32_e32 v141, v74, v143
	s_wait_loadcnt_dscnt 0x0
	v_dual_mul_f32 v161, v77, v145 :: v_dual_mul_f32 v164, v83, v151
	v_dual_mul_f32 v143, v76, v145 :: v_dual_fmac_f32 v152, v61, v115
	v_mul_f32_e32 v145, v78, v147
	v_mul_f32_e32 v163, v81, v149
	;; [unrolled: 1-line block ×4, first 2 shown]
	v_fma_f32 v151, v60, v115, -v153
	v_fma_f32 v115, v62, v130, -v154
	;; [unrolled: 1-line block ×3, first 2 shown]
	v_fmac_f32_e32 v131, v65, v132
	v_fma_f32 v132, v66, v134, -v156
	v_fmac_f32_e32 v133, v67, v134
	v_fma_f32 v134, v68, v136, -v157
	;; [unrolled: 2-line block ×9, first 2 shown]
	v_fmac_f32_e32 v149, v83, v150
	ds_store_2addr_b64 v117, v[151:152], v[115:116] offset0:28 offset1:43
	ds_store_2addr_b64 v117, v[130:131], v[132:133] offset0:58 offset1:73
	ds_store_2addr_b64 v117, v[134:135], v[136:137] offset0:88 offset1:103
	ds_store_2addr_b64 v117, v[138:139], v[140:141] offset0:118 offset1:133
	ds_store_2addr_b64 v117, v[142:143], v[144:145] offset0:148 offset1:163
	ds_store_2addr_b64 v117, v[146:147], v[148:149] offset0:178 offset1:193
.LBB0_9:
	s_wait_alu 0xfffe
	s_or_b32 exec_lo, exec_lo, s2
	global_wb scope:SCOPE_SE
	s_wait_dscnt 0x0
	s_barrier_signal -1
	s_barrier_wait -1
	global_inv scope:SCOPE_SE
	ds_load_2addr_b64 v[80:83], v117 offset1:15
	ds_load_2addr_b64 v[72:75], v117 offset0:30 offset1:45
	ds_load_2addr_b64 v[64:67], v117 offset0:60 offset1:75
	;; [unrolled: 1-line block ×5, first 2 shown]
	ds_load_b64 v[115:116], v117 offset:1440
	s_and_saveexec_b32 s0, vcc_lo
	s_cbranch_execz .LBB0_11
; %bb.10:
	ds_load_2addr_b64 v[56:59], v126 offset0:13 offset1:28
	ds_load_2addr_b64 v[20:23], v126 offset0:43 offset1:58
	;; [unrolled: 1-line block ×6, first 2 shown]
	ds_load_b64 v[113:114], v126 offset:1544
.LBB0_11:
	s_wait_alu 0xfffe
	s_or_b32 exec_lo, exec_lo, s0
	s_wait_dscnt 0x6
	v_dual_add_f32 v131, v80, v82 :: v_dual_add_f32 v132, v81, v83
	s_wait_dscnt 0x0
	v_dual_add_f32 v133, v115, v82 :: v_dual_add_nc_u32 v130, 0x1a0, v117
	v_dual_sub_f32 v134, v83, v116 :: v_dual_add_f32 v135, v116, v83
	s_delay_alu instid0(VALU_DEP_3)
	v_dual_add_f32 v131, v131, v72 :: v_dual_add_f32 v132, v132, v73
	v_sub_f32_e32 v136, v82, v115
	global_wb scope:SCOPE_SE
	s_barrier_signal -1
	v_dual_add_f32 v82, v131, v74 :: v_dual_add_f32 v83, v132, v75
	v_mul_f32_e32 v132, 0x3f62ad3f, v135
	v_mul_f32_e32 v137, 0xbf52af12, v134
	s_delay_alu instid0(VALU_DEP_3) | instskip(NEXT) | instid1(VALU_DEP_4)
	v_dual_mul_f32 v131, 0xbeedf032, v134 :: v_dual_add_f32 v82, v82, v64
	v_dual_add_f32 v83, v83, v65 :: v_dual_sub_f32 v154, v73, v79
	s_barrier_wait -1
	global_inv scope:SCOPE_SE
	v_dual_add_f32 v82, v82, v66 :: v_dual_add_f32 v83, v83, v67
	v_mul_f32_e32 v138, 0x3f116cb1, v135
	v_mul_f32_e32 v139, 0xbf7e222b, v134
	s_delay_alu instid0(VALU_DEP_3) | instskip(NEXT) | instid1(VALU_DEP_4)
	v_dual_mul_f32 v149, 0xbf29c268, v134 :: v_dual_add_f32 v82, v82, v60
	v_dual_add_f32 v83, v83, v61 :: v_dual_fmamk_f32 v142, v133, 0x3f62ad3f, v131
	v_fmamk_f32 v143, v136, 0x3eedf032, v132
	v_fma_f32 v131, 0x3f62ad3f, v133, -v131
	s_delay_alu instid0(VALU_DEP_3) | instskip(SKIP_2) | instid1(VALU_DEP_4)
	v_dual_add_f32 v82, v82, v62 :: v_dual_add_f32 v83, v83, v63
	v_mul_f32_e32 v140, 0x3df6dbef, v135
	v_mul_f32_e32 v141, 0xbf6f5d39, v134
	v_dual_fmamk_f32 v144, v133, 0x3f116cb1, v137 :: v_dual_add_f32 v131, v80, v131
	s_delay_alu instid0(VALU_DEP_4) | instskip(SKIP_3) | instid1(VALU_DEP_4)
	v_dual_add_f32 v82, v82, v68 :: v_dual_add_f32 v83, v83, v69
	v_fmac_f32_e32 v132, 0xbeedf032, v136
	v_fmamk_f32 v145, v136, 0x3f52af12, v138
	v_fma_f32 v137, 0x3f116cb1, v133, -v137
	v_dual_add_f32 v82, v82, v70 :: v_dual_add_f32 v83, v83, v71
	v_fmamk_f32 v146, v133, 0x3df6dbef, v139
	v_fmamk_f32 v147, v136, 0x3f7e222b, v140
	v_dual_fmac_f32 v138, 0xbf52af12, v136 :: v_dual_add_f32 v143, v81, v143
	s_delay_alu instid0(VALU_DEP_4) | instskip(SKIP_2) | instid1(VALU_DEP_3)
	v_dual_add_f32 v82, v82, v76 :: v_dual_add_f32 v83, v83, v77
	v_add_f32_e32 v132, v81, v132
	v_add_f32_e32 v144, v80, v144
	v_dual_add_f32 v137, v80, v137 :: v_dual_add_f32 v82, v82, v78
	s_delay_alu instid0(VALU_DEP_4) | instskip(SKIP_2) | instid1(VALU_DEP_3)
	v_dual_add_f32 v83, v83, v79 :: v_dual_add_f32 v138, v81, v138
	v_mul_f32_e32 v134, 0xbe750f2a, v134
	v_dual_mul_f32 v150, 0xbf3f9e67, v135 :: v_dual_fmamk_f32 v151, v133, 0xbf3f9e67, v149
	v_dual_add_f32 v82, v82, v115 :: v_dual_add_f32 v83, v83, v116
	v_fmamk_f32 v115, v133, 0xbeb58ec6, v141
	v_fma_f32 v141, 0xbeb58ec6, v133, -v141
	v_mul_f32_e32 v116, 0xbeb58ec6, v135
	v_dual_fmamk_f32 v153, v133, 0xbf788fa5, v134 :: v_dual_add_f32 v156, v78, v72
	v_fmamk_f32 v152, v136, 0x3f29c268, v150
	s_delay_alu instid0(VALU_DEP_4) | instskip(NEXT) | instid1(VALU_DEP_4)
	v_add_f32_e32 v141, v80, v141
	v_dual_fmamk_f32 v148, v136, 0x3f6f5d39, v116 :: v_dual_add_f32 v73, v79, v73
	v_mul_f32_e32 v135, 0xbf788fa5, v135
	v_add_f32_e32 v153, v80, v153
	v_fma_f32 v79, 0xbf788fa5, v133, -v134
	s_delay_alu instid0(VALU_DEP_4)
	v_add_f32_e32 v148, v81, v148
	v_fmac_f32_e32 v150, 0xbf29c268, v136
	v_fma_f32 v139, 0x3df6dbef, v133, -v139
	v_fmac_f32_e32 v140, 0xbf7e222b, v136
	v_dual_fmac_f32 v116, 0xbf6f5d39, v136 :: v_dual_add_f32 v151, v80, v151
	v_fma_f32 v149, 0xbf3f9e67, v133, -v149
	v_dual_add_f32 v152, v81, v152 :: v_dual_fmamk_f32 v155, v136, 0x3e750f2a, v135
	v_dual_fmac_f32 v135, 0xbe750f2a, v136 :: v_dual_sub_f32 v72, v72, v78
	v_mul_f32_e32 v133, 0x3f116cb1, v73
	v_dual_add_f32 v79, v80, v79 :: v_dual_add_f32 v150, v81, v150
	v_dual_add_f32 v142, v80, v142 :: v_dual_add_f32 v145, v81, v145
	;; [unrolled: 1-line block ×5, first 2 shown]
	v_add_f32_e32 v149, v80, v149
	v_dual_mul_f32 v157, 0xbf52af12, v154 :: v_dual_add_f32 v134, v81, v155
	v_dual_add_f32 v80, v81, v135 :: v_dual_fmamk_f32 v81, v72, 0x3f52af12, v133
	v_mul_f32_e32 v135, 0xbf6f5d39, v154
	s_delay_alu instid0(VALU_DEP_3) | instskip(SKIP_4) | instid1(VALU_DEP_4)
	v_fmamk_f32 v78, v156, 0x3f116cb1, v157
	v_fma_f32 v136, 0x3f116cb1, v156, -v157
	v_mul_f32_e32 v155, 0xbf3f9e67, v73
	v_add_f32_e32 v81, v81, v143
	v_fmamk_f32 v143, v156, 0xbeb58ec6, v135
	v_add_f32_e32 v131, v136, v131
	s_delay_alu instid0(VALU_DEP_2) | instskip(SKIP_2) | instid1(VALU_DEP_1)
	v_dual_add_f32 v143, v143, v144 :: v_dual_add_f32 v78, v78, v142
	v_fmac_f32_e32 v133, 0xbf52af12, v72
	v_mul_f32_e32 v142, 0xbeb58ec6, v73
	v_dual_add_f32 v132, v133, v132 :: v_dual_fmamk_f32 v133, v72, 0x3f6f5d39, v142
	v_fma_f32 v135, 0xbeb58ec6, v156, -v135
	v_mul_f32_e32 v136, 0xbe750f2a, v154
	s_delay_alu instid0(VALU_DEP_3) | instskip(SKIP_1) | instid1(VALU_DEP_3)
	v_dual_fmac_f32 v142, 0xbf6f5d39, v72 :: v_dual_add_f32 v133, v133, v145
	v_mul_f32_e32 v145, 0xbf788fa5, v73
	v_dual_add_f32 v135, v135, v137 :: v_dual_fmamk_f32 v144, v156, 0xbf788fa5, v136
	s_delay_alu instid0(VALU_DEP_3) | instskip(SKIP_1) | instid1(VALU_DEP_3)
	v_add_f32_e32 v137, v142, v138
	v_fma_f32 v136, 0xbf788fa5, v156, -v136
	v_add_f32_e32 v142, v144, v146
	v_fmamk_f32 v144, v72, 0x3e750f2a, v145
	v_fmac_f32_e32 v145, 0xbe750f2a, v72
	v_mul_f32_e32 v138, 0x3f29c268, v154
	v_add_f32_e32 v136, v136, v139
	s_delay_alu instid0(VALU_DEP_3) | instskip(SKIP_1) | instid1(VALU_DEP_4)
	v_dual_add_f32 v144, v144, v147 :: v_dual_add_f32 v139, v145, v140
	v_mul_f32_e32 v145, 0x3f7e222b, v154
	v_fmamk_f32 v146, v156, 0xbf3f9e67, v138
	v_fma_f32 v138, 0xbf3f9e67, v156, -v138
	s_delay_alu instid0(VALU_DEP_3) | instskip(NEXT) | instid1(VALU_DEP_3)
	v_fmamk_f32 v147, v156, 0x3df6dbef, v145
	v_dual_add_f32 v115, v146, v115 :: v_dual_mul_f32 v146, 0x3df6dbef, v73
	v_fmamk_f32 v140, v72, 0xbf29c268, v155
	s_delay_alu instid0(VALU_DEP_3) | instskip(SKIP_1) | instid1(VALU_DEP_4)
	v_dual_add_f32 v138, v138, v141 :: v_dual_add_f32 v147, v147, v151
	v_fma_f32 v145, 0x3df6dbef, v156, -v145
	v_fmamk_f32 v141, v72, 0xbf7e222b, v146
	v_fmac_f32_e32 v146, 0x3f7e222b, v72
	v_dual_add_f32 v140, v140, v148 :: v_dual_mul_f32 v73, 0x3f62ad3f, v73
	s_delay_alu instid0(VALU_DEP_4) | instskip(NEXT) | instid1(VALU_DEP_3)
	v_add_f32_e32 v145, v145, v149
	v_dual_sub_f32 v149, v75, v77 :: v_dual_add_f32 v146, v146, v150
	v_dual_mul_f32 v148, 0x3eedf032, v154 :: v_dual_add_f32 v141, v141, v152
	v_dual_add_f32 v152, v76, v74 :: v_dual_fmac_f32 v155, 0x3f29c268, v72
	s_delay_alu instid0(VALU_DEP_1) | instskip(NEXT) | instid1(VALU_DEP_1)
	v_dual_fmamk_f32 v151, v156, 0x3f62ad3f, v148 :: v_dual_add_f32 v116, v155, v116
	v_dual_add_f32 v150, v151, v153 :: v_dual_fmamk_f32 v151, v72, 0xbeedf032, v73
	v_mul_f32_e32 v153, 0xbf7e222b, v149
	v_fmac_f32_e32 v73, 0x3eedf032, v72
	v_sub_f32_e32 v72, v74, v76
	s_delay_alu instid0(VALU_DEP_4) | instskip(NEXT) | instid1(VALU_DEP_4)
	v_dual_add_f32 v134, v151, v134 :: v_dual_add_f32 v75, v77, v75
	v_fmamk_f32 v74, v152, 0x3df6dbef, v153
	v_fma_f32 v77, 0x3f62ad3f, v156, -v148
	s_delay_alu instid0(VALU_DEP_2) | instskip(SKIP_1) | instid1(VALU_DEP_3)
	v_dual_mul_f32 v151, 0x3f62ad3f, v75 :: v_dual_add_f32 v74, v74, v78
	v_dual_mul_f32 v76, 0x3df6dbef, v75 :: v_dual_add_f32 v73, v73, v80
	v_add_f32_e32 v77, v77, v79
	v_fma_f32 v80, 0x3df6dbef, v152, -v153
	v_mul_f32_e32 v79, 0xbe750f2a, v149
	s_delay_alu instid0(VALU_DEP_4) | instskip(NEXT) | instid1(VALU_DEP_3)
	v_fmamk_f32 v78, v72, 0x3f7e222b, v76
	v_add_f32_e32 v80, v80, v131
	v_mul_f32_e32 v148, 0xbf788fa5, v75
	s_delay_alu instid0(VALU_DEP_3) | instskip(SKIP_2) | instid1(VALU_DEP_4)
	v_dual_add_f32 v78, v78, v81 :: v_dual_fmamk_f32 v81, v152, 0xbf788fa5, v79
	v_fmac_f32_e32 v76, 0xbf7e222b, v72
	v_fma_f32 v79, 0xbf788fa5, v152, -v79
	v_fmamk_f32 v131, v72, 0x3e750f2a, v148
	s_delay_alu instid0(VALU_DEP_3) | instskip(NEXT) | instid1(VALU_DEP_3)
	v_dual_add_f32 v81, v81, v143 :: v_dual_add_f32 v76, v76, v132
	v_dual_mul_f32 v132, 0x3f6f5d39, v149 :: v_dual_add_f32 v79, v79, v135
	s_delay_alu instid0(VALU_DEP_3) | instskip(NEXT) | instid1(VALU_DEP_2)
	v_add_f32_e32 v131, v131, v133
	v_fmamk_f32 v133, v152, 0xbeb58ec6, v132
	v_fma_f32 v132, 0xbeb58ec6, v152, -v132
	v_mul_f32_e32 v143, 0xbeb58ec6, v75
	s_delay_alu instid0(VALU_DEP_3) | instskip(NEXT) | instid1(VALU_DEP_3)
	v_dual_fmac_f32 v148, 0xbe750f2a, v72 :: v_dual_add_f32 v133, v133, v142
	v_add_f32_e32 v132, v132, v136
	s_delay_alu instid0(VALU_DEP_3) | instskip(SKIP_1) | instid1(VALU_DEP_1)
	v_fmamk_f32 v142, v72, 0xbf6f5d39, v143
	v_fmac_f32_e32 v143, 0x3f6f5d39, v72
	v_dual_add_f32 v135, v148, v137 :: v_dual_add_f32 v136, v143, v139
	v_fmamk_f32 v139, v72, 0xbeedf032, v151
	v_fmac_f32_e32 v151, 0x3eedf032, v72
	v_mul_f32_e32 v137, 0x3eedf032, v149
	s_delay_alu instid0(VALU_DEP_3) | instskip(NEXT) | instid1(VALU_DEP_3)
	v_add_f32_e32 v139, v139, v140
	v_add_f32_e32 v116, v151, v116
	s_delay_alu instid0(VALU_DEP_3)
	v_fmamk_f32 v148, v152, 0x3f62ad3f, v137
	v_add_f32_e32 v142, v142, v144
	v_fma_f32 v137, 0x3f62ad3f, v152, -v137
	v_mul_f32_e32 v144, 0x3f116cb1, v75
	v_mul_f32_e32 v143, 0xbf52af12, v149
	;; [unrolled: 1-line block ×3, first 2 shown]
	s_delay_alu instid0(VALU_DEP_3) | instskip(SKIP_1) | instid1(VALU_DEP_4)
	v_dual_add_f32 v137, v137, v138 :: v_dual_fmamk_f32 v138, v72, 0x3f52af12, v144
	v_fmac_f32_e32 v144, 0xbf52af12, v72
	v_fmamk_f32 v140, v152, 0x3f116cb1, v143
	v_fma_f32 v143, 0x3f116cb1, v152, -v143
	v_dual_add_f32 v115, v148, v115 :: v_dual_mul_f32 v148, 0xbf29c268, v149
	s_delay_alu instid0(VALU_DEP_4) | instskip(SKIP_1) | instid1(VALU_DEP_4)
	v_add_f32_e32 v144, v144, v146
	v_add_f32_e32 v138, v138, v141
	;; [unrolled: 1-line block ×3, first 2 shown]
	v_sub_f32_e32 v145, v65, v71
	v_dual_add_f32 v140, v140, v147 :: v_dual_add_f32 v147, v70, v64
	v_dual_add_f32 v65, v71, v65 :: v_dual_sub_f32 v64, v64, v70
	v_fmamk_f32 v146, v72, 0x3f29c268, v75
	v_fmac_f32_e32 v75, 0xbf29c268, v72
	v_fma_f32 v71, 0xbf3f9e67, v152, -v148
	s_delay_alu instid0(VALU_DEP_4) | instskip(NEXT) | instid1(VALU_DEP_4)
	v_mul_f32_e32 v72, 0xbeb58ec6, v65
	v_dual_mul_f32 v149, 0xbf6f5d39, v145 :: v_dual_add_f32 v134, v146, v134
	v_mul_f32_e32 v146, 0xbf3f9e67, v65
	s_delay_alu instid0(VALU_DEP_4) | instskip(NEXT) | instid1(VALU_DEP_3)
	v_add_f32_e32 v71, v71, v77
	v_fmamk_f32 v70, v147, 0xbeb58ec6, v149
	s_delay_alu instid0(VALU_DEP_1) | instskip(SKIP_3) | instid1(VALU_DEP_4)
	v_dual_fmamk_f32 v141, v152, 0xbf3f9e67, v148 :: v_dual_add_f32 v70, v70, v74
	v_fmamk_f32 v74, v64, 0x3f6f5d39, v72
	v_fmac_f32_e32 v72, 0xbf6f5d39, v64
	v_fma_f32 v77, 0xbeb58ec6, v147, -v149
	v_add_f32_e32 v141, v141, v150
	s_delay_alu instid0(VALU_DEP_4) | instskip(NEXT) | instid1(VALU_DEP_4)
	v_dual_add_f32 v74, v74, v78 :: v_dual_add_f32 v73, v75, v73
	v_dual_add_f32 v72, v72, v76 :: v_dual_mul_f32 v75, 0x3f29c268, v145
	s_delay_alu instid0(VALU_DEP_4) | instskip(SKIP_2) | instid1(VALU_DEP_4)
	v_dual_add_f32 v77, v77, v80 :: v_dual_fmamk_f32 v76, v64, 0xbf29c268, v146
	v_mul_f32_e32 v80, 0x3eedf032, v145
	v_fmac_f32_e32 v146, 0x3f29c268, v64
	v_fmamk_f32 v78, v147, 0xbf3f9e67, v75
	v_fma_f32 v75, 0xbf3f9e67, v147, -v75
	s_delay_alu instid0(VALU_DEP_1) | instskip(NEXT) | instid1(VALU_DEP_4)
	v_add_f32_e32 v75, v75, v79
	v_add_f32_e32 v79, v146, v135
	s_delay_alu instid0(VALU_DEP_4) | instskip(NEXT) | instid1(VALU_DEP_1)
	v_dual_add_f32 v78, v78, v81 :: v_dual_fmamk_f32 v81, v147, 0x3f62ad3f, v80
	v_dual_add_f32 v81, v81, v133 :: v_dual_add_f32 v76, v76, v131
	v_mul_f32_e32 v131, 0x3f62ad3f, v65
	s_delay_alu instid0(VALU_DEP_1) | instskip(SKIP_4) | instid1(VALU_DEP_4)
	v_fmamk_f32 v133, v64, 0xbeedf032, v131
	v_fmac_f32_e32 v131, 0x3eedf032, v64
	v_fma_f32 v80, 0x3f62ad3f, v147, -v80
	v_mul_f32_e32 v148, 0x3df6dbef, v65
	v_mul_f32_e32 v135, 0xbf7e222b, v145
	v_add_f32_e32 v131, v131, v136
	s_delay_alu instid0(VALU_DEP_4) | instskip(NEXT) | instid1(VALU_DEP_4)
	v_add_f32_e32 v80, v80, v132
	v_fmamk_f32 v132, v64, 0x3f7e222b, v148
	v_mul_f32_e32 v136, 0x3e750f2a, v145
	s_delay_alu instid0(VALU_DEP_2) | instskip(NEXT) | instid1(VALU_DEP_2)
	v_dual_mul_f32 v145, 0x3f52af12, v145 :: v_dual_add_f32 v132, v132, v139
	v_fmamk_f32 v139, v147, 0xbf788fa5, v136
	s_delay_alu instid0(VALU_DEP_1)
	v_add_f32_e32 v139, v139, v140
	v_sub_f32_e32 v140, v67, v69
	v_dual_fmamk_f32 v146, v147, 0x3df6dbef, v135 :: v_dual_add_f32 v133, v133, v142
	v_fma_f32 v135, 0x3df6dbef, v147, -v135
	v_mul_f32_e32 v142, 0xbf788fa5, v65
	v_fma_f32 v136, 0xbf788fa5, v147, -v136
	s_delay_alu instid0(VALU_DEP_4)
	v_add_f32_e32 v115, v146, v115
	v_mul_f32_e32 v65, 0x3f116cb1, v65
	v_add_f32_e32 v135, v135, v137
	v_fmamk_f32 v137, v64, 0xbe750f2a, v142
	v_fmac_f32_e32 v142, 0x3e750f2a, v64
	v_add_f32_e32 v136, v136, v143
	v_add_f32_e32 v143, v68, v66
	;; [unrolled: 1-line block ×3, first 2 shown]
	v_fma_f32 v69, 0x3f116cb1, v147, -v145
	v_add_f32_e32 v142, v142, v144
	v_dual_fmac_f32 v148, 0xbf7e222b, v64 :: v_dual_add_f32 v137, v137, v138
	v_fmamk_f32 v138, v147, 0x3f116cb1, v145
	s_delay_alu instid0(VALU_DEP_4) | instskip(NEXT) | instid1(VALU_DEP_3)
	v_dual_mul_f32 v144, 0xbf29c268, v140 :: v_dual_add_f32 v69, v69, v71
	v_add_f32_e32 v116, v148, v116
	s_delay_alu instid0(VALU_DEP_3) | instskip(SKIP_4) | instid1(VALU_DEP_4)
	v_dual_mul_f32 v71, 0x3f7e222b, v140 :: v_dual_add_f32 v138, v138, v141
	v_fmamk_f32 v141, v64, 0xbf52af12, v65
	v_fmac_f32_e32 v65, 0x3f52af12, v64
	v_sub_f32_e32 v64, v66, v68
	v_fmamk_f32 v66, v143, 0xbf3f9e67, v144
	v_add_f32_e32 v134, v141, v134
	s_delay_alu instid0(VALU_DEP_4) | instskip(SKIP_3) | instid1(VALU_DEP_3)
	v_add_f32_e32 v65, v65, v73
	v_fma_f32 v73, 0xbf3f9e67, v143, -v144
	v_mul_f32_e32 v68, 0xbf3f9e67, v67
	v_dual_add_f32 v66, v66, v70 :: v_dual_mul_f32 v141, 0x3df6dbef, v67
	v_dual_mul_f32 v144, 0xbf788fa5, v67 :: v_dual_add_f32 v73, v73, v77
	s_delay_alu instid0(VALU_DEP_3) | instskip(SKIP_1) | instid1(VALU_DEP_2)
	v_fmamk_f32 v70, v64, 0x3f29c268, v68
	v_fmac_f32_e32 v68, 0xbf29c268, v64
	v_dual_mul_f32 v77, 0xbf52af12, v140 :: v_dual_add_f32 v70, v70, v74
	v_fmamk_f32 v74, v143, 0x3df6dbef, v71
	s_delay_alu instid0(VALU_DEP_3) | instskip(SKIP_2) | instid1(VALU_DEP_4)
	v_add_f32_e32 v68, v68, v72
	v_fmamk_f32 v72, v64, 0xbf7e222b, v141
	v_fma_f32 v71, 0x3df6dbef, v143, -v71
	v_dual_fmac_f32 v141, 0x3f7e222b, v64 :: v_dual_add_f32 v74, v74, v78
	s_delay_alu instid0(VALU_DEP_3) | instskip(SKIP_1) | instid1(VALU_DEP_4)
	v_add_f32_e32 v72, v72, v76
	v_fmamk_f32 v76, v143, 0x3f116cb1, v77
	v_add_f32_e32 v71, v71, v75
	s_delay_alu instid0(VALU_DEP_4) | instskip(SKIP_2) | instid1(VALU_DEP_2)
	v_add_f32_e32 v75, v141, v79
	v_mul_f32_e32 v79, 0x3e750f2a, v140
	v_fma_f32 v77, 0x3f116cb1, v143, -v77
	v_dual_add_f32 v76, v76, v81 :: v_dual_fmamk_f32 v141, v143, 0xbf788fa5, v79
	s_delay_alu instid0(VALU_DEP_2) | instskip(SKIP_1) | instid1(VALU_DEP_3)
	v_add_f32_e32 v77, v77, v80
	v_fma_f32 v79, 0xbf788fa5, v143, -v79
	v_dual_add_f32 v80, v141, v115 :: v_dual_fmamk_f32 v115, v64, 0xbe750f2a, v144
	v_mul_f32_e32 v78, 0x3f116cb1, v67
	s_delay_alu instid0(VALU_DEP_3) | instskip(NEXT) | instid1(VALU_DEP_3)
	v_add_f32_e32 v79, v79, v135
	v_add_f32_e32 v115, v115, v132
	s_delay_alu instid0(VALU_DEP_3) | instskip(SKIP_1) | instid1(VALU_DEP_1)
	v_fmamk_f32 v81, v64, 0x3f52af12, v78
	v_fmac_f32_e32 v78, 0xbf52af12, v64
	v_dual_add_f32 v78, v78, v131 :: v_dual_mul_f32 v131, 0x3eedf032, v140
	s_delay_alu instid0(VALU_DEP_3) | instskip(SKIP_4) | instid1(VALU_DEP_4)
	v_add_f32_e32 v81, v81, v133
	v_mul_f32_e32 v133, 0x3f62ad3f, v67
	v_mul_f32_e32 v140, 0xbf6f5d39, v140
	;; [unrolled: 1-line block ×3, first 2 shown]
	v_fmamk_f32 v132, v143, 0x3f62ad3f, v131
	v_fmamk_f32 v135, v64, 0xbeedf032, v133
	s_delay_alu instid0(VALU_DEP_2) | instskip(SKIP_2) | instid1(VALU_DEP_3)
	v_dual_fmac_f32 v133, 0x3eedf032, v64 :: v_dual_add_f32 v132, v132, v139
	v_fma_f32 v131, 0x3f62ad3f, v143, -v131
	v_add_f32_e32 v139, v62, v60
	v_dual_add_f32 v133, v133, v142 :: v_dual_add_f32 v142, v63, v61
	s_delay_alu instid0(VALU_DEP_3)
	v_dual_add_f32 v131, v131, v136 :: v_dual_sub_f32 v136, v61, v63
	v_add_f32_e32 v135, v135, v137
	v_fmamk_f32 v137, v143, 0xbeb58ec6, v140
	v_fma_f32 v61, 0xbeb58ec6, v143, -v140
	v_sub_f32_e32 v140, v60, v62
	v_fmac_f32_e32 v144, 0x3e750f2a, v64
	v_mul_f32_e32 v63, 0xbf788fa5, v142
	v_dual_add_f32 v137, v137, v138 :: v_dual_fmamk_f32 v138, v64, 0x3f6f5d39, v67
	v_mul_f32_e32 v141, 0xbe750f2a, v136
	s_delay_alu instid0(VALU_DEP_4) | instskip(NEXT) | instid1(VALU_DEP_3)
	v_add_f32_e32 v116, v144, v116
	v_dual_fmac_f32 v67, 0xbf6f5d39, v64 :: v_dual_add_f32 v134, v138, v134
	v_add_f32_e32 v138, v61, v69
	s_delay_alu instid0(VALU_DEP_4) | instskip(NEXT) | instid1(VALU_DEP_3)
	v_fmamk_f32 v60, v139, 0xbf788fa5, v141
	v_add_f32_e32 v143, v67, v65
	v_mul_f32_e32 v65, 0x3eedf032, v136
	v_fma_f32 v62, 0xbf788fa5, v139, -v141
	v_fmamk_f32 v61, v140, 0x3e750f2a, v63
	v_add_f32_e32 v60, v60, v66
	s_delay_alu instid0(VALU_DEP_4) | instskip(NEXT) | instid1(VALU_DEP_4)
	v_dual_mul_f32 v67, 0x3f62ad3f, v142 :: v_dual_fmamk_f32 v64, v139, 0x3f62ad3f, v65
	v_dual_fmac_f32 v63, 0xbe750f2a, v140 :: v_dual_add_f32 v62, v62, v73
	s_delay_alu instid0(VALU_DEP_2) | instskip(NEXT) | instid1(VALU_DEP_2)
	v_dual_add_f32 v61, v61, v70 :: v_dual_fmamk_f32 v66, v140, 0xbeedf032, v67
	v_dual_add_f32 v64, v64, v74 :: v_dual_add_f32 v63, v63, v68
	v_fma_f32 v68, 0x3f62ad3f, v139, -v65
	v_mul_f32_e32 v69, 0xbf29c268, v136
	s_delay_alu instid0(VALU_DEP_4) | instskip(NEXT) | instid1(VALU_DEP_3)
	v_dual_add_f32 v65, v66, v72 :: v_dual_mul_f32 v72, 0xbf3f9e67, v142
	v_dual_mul_f32 v73, 0x3f52af12, v136 :: v_dual_add_f32 v66, v68, v71
	s_delay_alu instid0(VALU_DEP_3) | instskip(SKIP_2) | instid1(VALU_DEP_3)
	v_fmamk_f32 v70, v139, 0xbf3f9e67, v69
	v_fma_f32 v71, 0xbf3f9e67, v139, -v69
	v_fmac_f32_e32 v67, 0x3eedf032, v140
	v_add_f32_e32 v68, v70, v76
	v_fmamk_f32 v70, v140, 0x3f29c268, v72
	v_fmac_f32_e32 v72, 0xbf29c268, v140
	s_delay_alu instid0(VALU_DEP_2) | instskip(SKIP_3) | instid1(VALU_DEP_4)
	v_dual_fmamk_f32 v74, v139, 0x3f116cb1, v73 :: v_dual_add_f32 v69, v70, v81
	v_add_f32_e32 v70, v71, v77
	v_add_f32_e32 v67, v67, v75
	v_mul_f32_e32 v75, 0x3f116cb1, v142
	v_dual_add_f32 v71, v72, v78 :: v_dual_add_f32 v72, v74, v80
	v_fma_f32 v77, 0x3f116cb1, v139, -v73
	v_mul_f32_e32 v80, 0xbeb58ec6, v142
	s_delay_alu instid0(VALU_DEP_4) | instskip(SKIP_2) | instid1(VALU_DEP_2)
	v_fmamk_f32 v74, v140, 0xbf52af12, v75
	v_fmac_f32_e32 v75, 0x3f52af12, v140
	v_mul_f32_e32 v81, 0x3f7e222b, v136
	v_add_f32_e32 v75, v75, v116
	s_delay_alu instid0(VALU_DEP_4) | instskip(SKIP_3) | instid1(VALU_DEP_3)
	v_add_f32_e32 v73, v74, v115
	v_dual_add_f32 v74, v77, v79 :: v_dual_fmamk_f32 v77, v140, 0x3f6f5d39, v80
	v_mul_f32_e32 v76, 0xbf6f5d39, v136
	v_dual_mul_f32 v116, 0x3df6dbef, v142 :: v_dual_fmamk_f32 v115, v139, 0x3df6dbef, v81
	v_dual_fmac_f32 v80, 0xbf6f5d39, v140 :: v_dual_add_f32 v77, v77, v135
	s_delay_alu instid0(VALU_DEP_3) | instskip(SKIP_1) | instid1(VALU_DEP_2)
	v_fmamk_f32 v78, v139, 0xbeb58ec6, v76
	v_fma_f32 v79, 0xbeb58ec6, v139, -v76
	v_add_f32_e32 v76, v78, v132
	s_delay_alu instid0(VALU_DEP_2) | instskip(SKIP_2) | instid1(VALU_DEP_2)
	v_dual_add_f32 v78, v79, v131 :: v_dual_add_f32 v79, v80, v133
	v_dual_fmamk_f32 v131, v140, 0xbf7e222b, v116 :: v_dual_add_f32 v80, v115, v137
	v_fma_f32 v132, 0x3df6dbef, v139, -v81
	v_dual_fmac_f32 v116, 0x3f7e222b, v140 :: v_dual_add_f32 v81, v131, v134
	s_delay_alu instid0(VALU_DEP_2) | instskip(NEXT) | instid1(VALU_DEP_2)
	v_add_f32_e32 v115, v132, v138
	v_add_f32_e32 v116, v116, v143
	ds_store_2addr_b64 v129, v[82:83], v[60:61] offset1:1
	ds_store_2addr_b64 v129, v[64:65], v[68:69] offset0:2 offset1:3
	ds_store_2addr_b64 v129, v[72:73], v[76:77] offset0:4 offset1:5
	;; [unrolled: 1-line block ×5, first 2 shown]
	ds_store_b64 v129, v[62:63] offset:96
	s_and_saveexec_b32 s0, vcc_lo
	s_cbranch_execz .LBB0_13
; %bb.12:
	v_dual_add_f32 v80, v114, v59 :: v_dual_add_f32 v81, v19, v21
	v_dual_sub_f32 v70, v58, v113 :: v_dual_sub_f32 v67, v20, v18
	s_delay_alu instid0(VALU_DEP_2) | instskip(NEXT) | instid1(VALU_DEP_3)
	v_dual_add_f32 v82, v17, v23 :: v_dual_mul_f32 v83, 0xbf788fa5, v80
	v_dual_mul_f32 v116, 0x3f62ad3f, v81 :: v_dual_sub_f32 v69, v26, v32
	v_dual_sub_f32 v68, v22, v16 :: v_dual_add_f32 v115, v35, v25
	s_delay_alu instid0(VALU_DEP_3) | instskip(NEXT) | instid1(VALU_DEP_4)
	v_dual_fmamk_f32 v60, v70, 0x3e750f2a, v83 :: v_dual_add_f32 v71, v113, v58
	v_mul_f32_e32 v131, 0xbf3f9e67, v82
	s_delay_alu instid0(VALU_DEP_4) | instskip(NEXT) | instid1(VALU_DEP_3)
	v_dual_fmamk_f32 v61, v67, 0xbeedf032, v116 :: v_dual_add_f32 v72, v18, v20
	v_add_f32_e32 v60, v57, v60
	v_dual_sub_f32 v66, v24, v34 :: v_dual_add_f32 v129, v33, v27
	v_dual_sub_f32 v132, v59, v114 :: v_dual_mul_f32 v133, 0x3f116cb1, v115
	v_dual_fmamk_f32 v62, v68, 0x3f29c268, v131 :: v_dual_sub_f32 v135, v21, v19
	s_delay_alu instid0(VALU_DEP_4) | instskip(NEXT) | instid1(VALU_DEP_3)
	v_add_f32_e32 v60, v61, v60
	v_dual_mul_f32 v134, 0xbe750f2a, v132 :: v_dual_sub_f32 v137, v23, v17
	s_delay_alu instid0(VALU_DEP_4) | instskip(NEXT) | instid1(VALU_DEP_4)
	v_fmamk_f32 v61, v66, 0xbf52af12, v133
	v_dual_mul_f32 v136, 0x3eedf032, v135 :: v_dual_add_f32 v141, v55, v53
	s_delay_alu instid0(VALU_DEP_4) | instskip(SKIP_2) | instid1(VALU_DEP_3)
	v_add_f32_e32 v60, v62, v60
	v_dual_mul_f32 v138, 0xbeb58ec6, v129 :: v_dual_add_f32 v75, v34, v24
	v_dual_fmamk_f32 v62, v71, 0xbf788fa5, v134 :: v_dual_add_f32 v73, v16, v22
	v_dual_add_f32 v60, v61, v60 :: v_dual_mul_f32 v139, 0xbf29c268, v137
	s_delay_alu instid0(VALU_DEP_3) | instskip(SKIP_1) | instid1(VALU_DEP_2)
	v_dual_fmamk_f32 v63, v69, 0x3f6f5d39, v138 :: v_dual_sub_f32 v144, v27, v33
	v_dual_mul_f32 v143, 0x3df6dbef, v141 :: v_dual_sub_f32 v74, v52, v54
	v_dual_add_f32 v61, v56, v62 :: v_dual_add_f32 v60, v63, v60
	v_add_f32_e32 v77, v54, v52
	v_dual_mul_f32 v147, 0x3df6dbef, v81 :: v_dual_sub_f32 v148, v53, v55
	s_delay_alu instid0(VALU_DEP_4) | instskip(SKIP_4) | instid1(VALU_DEP_4)
	v_fmamk_f32 v63, v74, 0xbf7e222b, v143
	v_fmamk_f32 v62, v72, 0x3f62ad3f, v136
	v_sub_f32_e32 v140, v25, v35
	v_dual_add_f32 v76, v32, v26 :: v_dual_mul_f32 v145, 0xbf6f5d39, v144
	v_mul_f32_e32 v149, 0x3f116cb1, v82
	v_dual_add_f32 v61, v62, v61 :: v_dual_fmamk_f32 v62, v73, 0xbf3f9e67, v139
	s_delay_alu instid0(VALU_DEP_4) | instskip(NEXT) | instid1(VALU_DEP_4)
	v_mul_f32_e32 v142, 0x3f52af12, v140
	v_dual_fmamk_f32 v64, v76, 0xbeb58ec6, v145 :: v_dual_mul_f32 v157, 0xbeb58ec6, v141
	v_dual_mul_f32 v150, 0x3f7e222b, v148 :: v_dual_mul_f32 v153, 0x3f7e222b, v135
	s_delay_alu instid0(VALU_DEP_3) | instskip(SKIP_2) | instid1(VALU_DEP_4)
	v_dual_add_f32 v61, v62, v61 :: v_dual_fmamk_f32 v62, v75, 0x3f116cb1, v142
	v_mul_f32_e32 v156, 0x3e750f2a, v140
	v_mul_f32_e32 v179, 0xbe750f2a, v135
	v_fmamk_f32 v78, v72, 0x3df6dbef, v153
	v_mul_f32_e32 v166, 0xbf788fa5, v129
	v_dual_add_f32 v62, v62, v61 :: v_dual_add_f32 v61, v63, v60
	v_fmamk_f32 v63, v67, 0xbf7e222b, v147
	v_mul_f32_e32 v151, 0xbf29c268, v132
	v_mul_f32_e32 v146, 0xbf3f9e67, v80
	s_delay_alu instid0(VALU_DEP_4)
	v_add_f32_e32 v60, v64, v62
	v_fmamk_f32 v64, v77, 0x3df6dbef, v150
	v_mul_f32_e32 v165, 0x3f29c268, v135
	v_mul_f32_e32 v160, 0xbf3f9e67, v81
	v_fmamk_f32 v65, v70, 0x3f29c268, v146
	v_fmamk_f32 v181, v72, 0xbf788fa5, v179
	;; [unrolled: 1-line block ×3, first 2 shown]
	v_mul_f32_e32 v159, 0x3eedf032, v144
	s_delay_alu instid0(VALU_DEP_4) | instskip(SKIP_1) | instid1(VALU_DEP_3)
	v_dual_fmamk_f32 v167, v72, 0xbf3f9e67, v165 :: v_dual_add_f32 v62, v57, v65
	v_dual_mul_f32 v174, 0xbeb58ec6, v82 :: v_dual_mul_f32 v187, 0xbeb58ec6, v81
	v_fmamk_f32 v79, v76, 0x3f62ad3f, v159
	v_mul_f32_e32 v162, 0xbf6f5d39, v148
	s_delay_alu instid0(VALU_DEP_4) | instskip(SKIP_4) | instid1(VALU_DEP_4)
	v_dual_add_f32 v62, v63, v62 :: v_dual_fmamk_f32 v63, v68, 0x3f52af12, v149
	v_fmamk_f32 v65, v71, 0xbf3f9e67, v151
	v_mul_f32_e32 v152, 0xbf788fa5, v115
	v_mul_f32_e32 v189, 0xbf52af12, v132
	;; [unrolled: 1-line block ×3, first 2 shown]
	v_dual_mul_f32 v176, 0xbf7e222b, v132 :: v_dual_add_f32 v65, v56, v65
	s_delay_alu instid0(VALU_DEP_4)
	v_dual_add_f32 v62, v63, v62 :: v_dual_fmamk_f32 v63, v66, 0xbe750f2a, v152
	v_mul_f32_e32 v155, 0xbf52af12, v137
	v_mul_f32_e32 v183, 0xbf3f9e67, v141
	v_fmamk_f32 v192, v71, 0x3f116cb1, v189
	v_mul_f32_e32 v194, 0x3df6dbef, v129
	v_add_f32_e32 v62, v63, v62
	v_add_f32_e32 v60, v64, v60
	v_dual_add_f32 v64, v78, v65 :: v_dual_fmamk_f32 v65, v73, 0x3f116cb1, v155
	v_mul_f32_e32 v154, 0x3f62ad3f, v129
	v_dual_fmamk_f32 v185, v74, 0x3f29c268, v183 :: v_dual_add_f32 v192, v56, v192
	v_fmamk_f32 v172, v70, 0x3f7e222b, v170
	v_mul_f32_e32 v164, 0x3df6dbef, v115
	s_delay_alu instid0(VALU_DEP_4) | instskip(SKIP_2) | instid1(VALU_DEP_3)
	v_fmamk_f32 v63, v69, 0xbeedf032, v154
	v_dual_fmamk_f32 v197, v69, 0xbf7e222b, v194 :: v_dual_add_f32 v58, v58, v56
	v_fmamk_f32 v178, v71, 0x3df6dbef, v176
	v_dual_mul_f32 v175, 0x3f52af12, v148 :: v_dual_add_f32 v62, v63, v62
	v_add_f32_e32 v63, v65, v64
	v_fmamk_f32 v65, v74, 0x3f6f5d39, v157
	v_fmamk_f32 v64, v75, 0xbf788fa5, v156
	v_add_f32_e32 v178, v56, v178
	v_mul_f32_e32 v168, 0x3eedf032, v137
	v_mul_f32_e32 v173, 0xbf788fa5, v81
	s_delay_alu instid0(VALU_DEP_4)
	v_dual_mul_f32 v171, 0x3e750f2a, v144 :: v_dual_add_f32 v64, v64, v63
	v_add_f32_e32 v63, v65, v62
	v_fmamk_f32 v65, v67, 0xbf29c268, v160
	v_mul_f32_e32 v163, 0xbf6f5d39, v132
	v_mul_f32_e32 v158, 0xbeb58ec6, v80
	v_dual_add_f32 v64, v79, v64 :: v_dual_fmamk_f32 v177, v77, 0x3f116cb1, v175
	v_mul_f32_e32 v180, 0x3f116cb1, v129
	s_delay_alu instid0(VALU_DEP_4) | instskip(NEXT) | instid1(VALU_DEP_4)
	v_fmamk_f32 v79, v71, 0xbeb58ec6, v163
	v_fmamk_f32 v78, v70, 0x3f6f5d39, v158
	v_mul_f32_e32 v193, 0xbf6f5d39, v135
	v_mul_f32_e32 v184, 0x3f116cb1, v80
	s_delay_alu instid0(VALU_DEP_4) | instskip(NEXT) | instid1(VALU_DEP_4)
	v_dual_mul_f32 v182, 0x3f6f5d39, v137 :: v_dual_add_f32 v79, v56, v79
	v_add_f32_e32 v62, v57, v78
	v_fmamk_f32 v78, v77, 0xbeb58ec6, v162
	v_mul_f32_e32 v161, 0x3f62ad3f, v82
	v_fmamk_f32 v195, v72, 0xbeb58ec6, v193
	v_fmamk_f32 v186, v70, 0x3f52af12, v184
	v_add_f32_e32 v62, v65, v62
	v_mul_f32_e32 v196, 0xbe750f2a, v137
	v_fmamk_f32 v65, v68, 0xbeedf032, v161
	v_dual_mul_f32 v190, 0xbf3f9e67, v115 :: v_dual_mul_f32 v129, 0xbf3f9e67, v129
	v_fmac_f32_e32 v149, 0xbf52af12, v68
	v_fmac_f32_e32 v146, 0xbf29c268, v70
	s_delay_alu instid0(VALU_DEP_4) | instskip(SKIP_3) | instid1(VALU_DEP_4)
	v_dual_add_f32 v62, v65, v62 :: v_dual_fmamk_f32 v65, v66, 0x3f7e222b, v164
	v_dual_add_f32 v59, v59, v57 :: v_dual_add_f32 v20, v20, v58
	v_fmac_f32_e32 v83, 0xbe750f2a, v70
	v_fmac_f32_e32 v147, 0x3f7e222b, v67
	v_dual_add_f32 v65, v65, v62 :: v_dual_add_f32 v62, v78, v64
	v_add_f32_e32 v64, v167, v79
	v_fmamk_f32 v78, v73, 0x3f62ad3f, v168
	v_mul_f32_e32 v167, 0xbf7e222b, v140
	v_dual_add_f32 v21, v21, v59 :: v_dual_add_f32 v20, v22, v20
	v_dual_fmac_f32 v154, 0x3eedf032, v69 :: v_dual_fmac_f32 v161, 0x3eedf032, v68
	s_delay_alu instid0(VALU_DEP_4) | instskip(NEXT) | instid1(VALU_DEP_4)
	v_dual_add_f32 v64, v78, v64 :: v_dual_add_f32 v65, v169, v65
	v_fmamk_f32 v78, v75, 0x3df6dbef, v167
	v_mul_f32_e32 v169, 0x3f116cb1, v141
	v_dual_add_f32 v21, v23, v21 :: v_dual_add_f32 v20, v24, v20
	v_fmac_f32_e32 v131, 0xbf29c268, v68
	s_delay_alu instid0(VALU_DEP_4) | instskip(NEXT) | instid1(VALU_DEP_4)
	v_add_f32_e32 v64, v78, v64
	v_fmamk_f32 v79, v74, 0xbf52af12, v169
	s_delay_alu instid0(VALU_DEP_4) | instskip(SKIP_2) | instid1(VALU_DEP_4)
	v_add_f32_e32 v21, v25, v21
	v_fmamk_f32 v25, v69, 0x3f29c268, v129
	v_mul_f32_e32 v200, 0x3f116cb1, v81
	v_dual_add_f32 v20, v26, v20 :: v_dual_add_f32 v65, v79, v65
	v_dual_add_f32 v79, v57, v172 :: v_dual_fmamk_f32 v172, v67, 0x3e750f2a, v173
	v_dual_fmamk_f32 v78, v76, 0xbf788fa5, v171 :: v_dual_add_f32 v21, v27, v21
	s_delay_alu instid0(VALU_DEP_3) | instskip(SKIP_1) | instid1(VALU_DEP_3)
	v_add_f32_e32 v20, v52, v20
	v_mul_f32_e32 v52, 0xbf788fa5, v141
	v_dual_fmac_f32 v133, 0x3f52af12, v66 :: v_dual_add_f32 v64, v78, v64
	v_add_f32_e32 v78, v172, v79
	v_fmamk_f32 v79, v68, 0xbf6f5d39, v174
	v_mul_f32_e32 v172, 0x3f62ad3f, v115
	v_mul_f32_e32 v115, 0xbeb58ec6, v115
	v_dual_add_f32 v21, v53, v21 :: v_dual_add_f32 v20, v54, v20
	s_delay_alu instid0(VALU_DEP_3) | instskip(SKIP_1) | instid1(VALU_DEP_3)
	v_dual_add_f32 v78, v79, v78 :: v_dual_fmamk_f32 v79, v66, 0xbeedf032, v172
	v_mul_f32_e32 v53, 0xbf6f5d39, v140
	v_dual_add_f32 v21, v55, v21 :: v_dual_mul_f32 v132, 0xbeedf032, v132
	s_delay_alu instid0(VALU_DEP_4) | instskip(NEXT) | instid1(VALU_DEP_4)
	v_add_f32_e32 v20, v32, v20
	v_dual_add_f32 v78, v79, v78 :: v_dual_fmamk_f32 v79, v69, 0x3f52af12, v180
	v_add_f32_e32 v64, v177, v64
	v_add_f32_e32 v177, v181, v178
	v_fmamk_f32 v178, v73, 0xbeb58ec6, v182
	s_delay_alu instid0(VALU_DEP_4) | instskip(SKIP_2) | instid1(VALU_DEP_4)
	v_dual_mul_f32 v181, 0x3eedf032, v140 :: v_dual_add_f32 v78, v79, v78
	v_add_f32_e32 v21, v33, v21
	v_mul_f32_e32 v33, 0xbf29c268, v144
	v_add_f32_e32 v79, v178, v177
	s_delay_alu instid0(VALU_DEP_4) | instskip(NEXT) | instid1(VALU_DEP_4)
	v_fmamk_f32 v177, v75, 0x3f62ad3f, v181
	v_dual_mul_f32 v178, 0xbf52af12, v144 :: v_dual_add_f32 v21, v35, v21
	v_fmamk_f32 v58, v71, 0x3f62ad3f, v132
	s_delay_alu instid0(VALU_DEP_3) | instskip(NEXT) | instid1(VALU_DEP_3)
	v_dual_mul_f32 v32, 0xbe750f2a, v148 :: v_dual_add_f32 v177, v177, v79
	v_dual_fmamk_f32 v188, v76, 0x3f116cb1, v178 :: v_dual_add_f32 v79, v185, v78
	v_dual_add_f32 v78, v57, v186 :: v_dual_fmamk_f32 v185, v67, 0x3f6f5d39, v187
	s_delay_alu instid0(VALU_DEP_2) | instskip(SKIP_2) | instid1(VALU_DEP_3)
	v_dual_mul_f32 v186, 0xbf788fa5, v82 :: v_dual_add_f32 v177, v188, v177
	v_mul_f32_e32 v188, 0xbf29c268, v148
	v_mul_f32_e32 v82, 0x3df6dbef, v82
	v_dual_add_f32 v78, v185, v78 :: v_dual_fmamk_f32 v185, v68, 0x3e750f2a, v186
	v_dual_add_f32 v21, v17, v21 :: v_dual_add_f32 v22, v56, v58
	v_fmac_f32_e32 v174, 0x3f6f5d39, v68
	v_fmac_f32_e32 v158, 0xbf6f5d39, v70
	s_delay_alu instid0(VALU_DEP_4) | instskip(SKIP_4) | instid1(VALU_DEP_4)
	v_dual_add_f32 v78, v185, v78 :: v_dual_fmamk_f32 v185, v66, 0xbf29c268, v190
	v_fmamk_f32 v191, v77, 0xbf3f9e67, v188
	v_add_f32_e32 v19, v19, v21
	v_fma_f32 v21, 0xbf788fa5, v71, -v134
	v_dual_add_f32 v26, v57, v158 :: v_dual_fmac_f32 v173, 0xbe750f2a, v67
	v_dual_add_f32 v185, v185, v78 :: v_dual_add_f32 v78, v191, v177
	v_add_f32_e32 v177, v195, v192
	v_mul_f32_e32 v192, 0x3f29c268, v140
	v_mul_f32_e32 v195, 0x3f62ad3f, v141
	s_delay_alu instid0(VALU_DEP_4) | instskip(SKIP_2) | instid1(VALU_DEP_4)
	v_add_f32_e32 v185, v197, v185
	v_mul_f32_e32 v197, 0x3f62ad3f, v80
	v_add_f32_e32 v19, v114, v19
	v_dual_add_f32 v21, v56, v21 :: v_dual_fmamk_f32 v198, v74, 0xbeedf032, v195
	v_fmac_f32_e32 v152, 0x3e750f2a, v66
	s_delay_alu instid0(VALU_DEP_4) | instskip(SKIP_3) | instid1(VALU_DEP_4)
	v_fmamk_f32 v199, v70, 0x3eedf032, v197
	v_fma_f32 v27, 0xbf3f9e67, v72, -v165
	v_fmac_f32_e32 v197, 0xbeedf032, v70
	v_dual_add_f32 v81, v198, v185 :: v_dual_fmamk_f32 v198, v67, 0x3f52af12, v200
	v_dual_add_f32 v185, v57, v199 :: v_dual_fmac_f32 v184, 0xbf52af12, v70
	v_fmac_f32_e32 v172, 0x3eedf032, v66
	v_fmac_f32_e32 v180, 0xbf52af12, v69
	s_delay_alu instid0(VALU_DEP_3)
	v_dual_fmac_f32 v190, 0x3f29c268, v66 :: v_dual_add_f32 v185, v198, v185
	v_fmamk_f32 v198, v68, 0x3f7e222b, v82
	v_add_f32_e32 v54, v57, v184
	v_fmac_f32_e32 v82, 0xbf7e222b, v68
	v_fmac_f32_e32 v164, 0xbf7e222b, v66
	v_fma_f32 v35, 0x3f116cb1, v77, -v175
	v_add_f32_e32 v59, v198, v185
	v_fmamk_f32 v185, v66, 0x3f6f5d39, v115
	v_fma_f32 v55, 0xbf3f9e67, v77, -v188
	v_fmac_f32_e32 v143, 0x3f7e222b, v74
	v_dual_fmac_f32 v138, 0xbf6f5d39, v69 :: v_dual_fmac_f32 v157, 0xbf6f5d39, v74
	s_delay_alu instid0(VALU_DEP_4) | instskip(SKIP_4) | instid1(VALU_DEP_4)
	v_add_f32_e32 v23, v185, v59
	v_fmamk_f32 v191, v73, 0xbf788fa5, v196
	v_mul_f32_e32 v59, 0xbf52af12, v135
	v_fmac_f32_e32 v186, 0xbe750f2a, v68
	v_fmac_f32_e32 v169, 0x3f52af12, v74
	v_dual_add_f32 v23, v25, v23 :: v_dual_add_f32 v80, v191, v177
	v_fmamk_f32 v177, v75, 0xbf3f9e67, v192
	v_fmamk_f32 v24, v72, 0x3f116cb1, v59
	v_mul_f32_e32 v191, 0x3f7e222b, v144
	v_fmamk_f32 v25, v74, 0x3e750f2a, v52
	v_mul_f32_e32 v58, 0xbf7e222b, v137
	v_add_f32_e32 v80, v177, v80
	v_add_f32_e32 v22, v24, v22
	v_fmamk_f32 v177, v76, 0x3df6dbef, v191
	v_add_f32_e32 v17, v25, v23
	v_fmamk_f32 v24, v73, 0x3df6dbef, v58
	v_dual_add_f32 v20, v34, v20 :: v_dual_add_f32 v23, v57, v146
	s_delay_alu instid0(VALU_DEP_4) | instskip(NEXT) | instid1(VALU_DEP_3)
	v_add_f32_e32 v80, v177, v80
	v_dual_mul_f32 v177, 0x3eedf032, v148 :: v_dual_add_f32 v22, v24, v22
	v_fmamk_f32 v24, v75, 0xbeb58ec6, v53
	s_delay_alu instid0(VALU_DEP_4) | instskip(NEXT) | instid1(VALU_DEP_3)
	v_dual_add_f32 v20, v16, v20 :: v_dual_add_f32 v23, v147, v23
	v_fmamk_f32 v199, v77, 0x3f62ad3f, v177
	v_fma_f32 v25, 0xbf3f9e67, v71, -v151
	s_delay_alu instid0(VALU_DEP_4) | instskip(SKIP_4) | instid1(VALU_DEP_4)
	v_add_f32_e32 v22, v24, v22
	v_fmamk_f32 v24, v76, 0xbf3f9e67, v33
	v_add_f32_e32 v18, v18, v20
	v_add_f32_e32 v20, v57, v83
	v_fmac_f32_e32 v160, 0x3f29c268, v67
	v_dual_fmac_f32 v187, 0xbf6f5d39, v67 :: v_dual_add_f32 v22, v24, v22
	v_fmamk_f32 v24, v77, 0xbf788fa5, v32
	v_add_f32_e32 v18, v113, v18
	v_fmac_f32_e32 v200, 0xbf52af12, v67
	v_fmac_f32_e32 v194, 0x3f7e222b, v69
	;; [unrolled: 1-line block ×3, first 2 shown]
	v_add_f32_e32 v16, v24, v22
	v_fma_f32 v22, 0x3f62ad3f, v72, -v136
	v_fma_f32 v24, 0x3df6dbef, v77, -v150
	;; [unrolled: 1-line block ×3, first 2 shown]
	v_fmac_f32_e32 v170, 0xbf7e222b, v70
	v_fmac_f32_e32 v166, 0x3e750f2a, v69
	v_add_f32_e32 v21, v22, v21
	v_fma_f32 v22, 0xbf3f9e67, v73, -v139
	v_add_f32_e32 v54, v187, v54
	v_fma_f32 v34, 0xbf788fa5, v76, -v171
	;; [unrolled: 2-line block ×4, first 2 shown]
	v_fmac_f32_e32 v116, 0x3eedf032, v67
	v_dual_add_f32 v54, v186, v54 :: v_dual_fmac_f32 v129, 0xbf29c268, v69
	v_fmac_f32_e32 v183, 0xbf29c268, v74
	s_delay_alu instid0(VALU_DEP_3) | instskip(SKIP_4) | instid1(VALU_DEP_4)
	v_dual_add_f32 v21, v22, v21 :: v_dual_add_f32 v20, v116, v20
	v_fma_f32 v22, 0xbeb58ec6, v76, -v145
	v_add_f32_e32 v26, v160, v26
	v_add_f32_e32 v54, v190, v54
	v_fmac_f32_e32 v195, 0x3eedf032, v74
	v_dual_fmac_f32 v115, 0xbf6f5d39, v66 :: v_dual_add_f32 v22, v22, v21
	v_dual_add_f32 v23, v149, v23 :: v_dual_add_f32 v20, v131, v20
	s_delay_alu instid0(VALU_DEP_1) | instskip(NEXT) | instid1(VALU_DEP_2)
	v_dual_add_f32 v26, v161, v26 :: v_dual_add_f32 v23, v152, v23
	v_add_f32_e32 v20, v133, v20
	s_delay_alu instid0(VALU_DEP_2) | instskip(NEXT) | instid1(VALU_DEP_2)
	v_add_f32_e32 v26, v164, v26
	v_add_f32_e32 v20, v138, v20
	s_delay_alu instid0(VALU_DEP_1) | instskip(SKIP_2) | instid1(VALU_DEP_1)
	v_dual_add_f32 v26, v166, v26 :: v_dual_add_f32 v21, v143, v20
	v_add_f32_e32 v20, v24, v22
	v_add_f32_e32 v22, v154, v23
	;; [unrolled: 1-line block ×3, first 2 shown]
	v_fma_f32 v22, 0xbeb58ec6, v71, -v163
	s_delay_alu instid0(VALU_DEP_1) | instskip(NEXT) | instid1(VALU_DEP_1)
	v_add_f32_e32 v22, v56, v22
	v_add_f32_e32 v22, v27, v22
	v_fma_f32 v27, 0x3f62ad3f, v73, -v168
	s_delay_alu instid0(VALU_DEP_1) | instskip(SKIP_3) | instid1(VALU_DEP_1)
	v_add_f32_e32 v22, v27, v22
	v_fma_f32 v27, 0x3df6dbef, v75, -v167
	v_add_f32_e32 v24, v56, v25
	v_fma_f32 v25, 0x3df6dbef, v72, -v153
	v_dual_add_f32 v27, v27, v22 :: v_dual_add_f32 v24, v25, v24
	v_fma_f32 v25, 0x3f116cb1, v73, -v155
	s_delay_alu instid0(VALU_DEP_1) | instskip(SKIP_1) | instid1(VALU_DEP_1)
	v_add_f32_e32 v24, v25, v24
	v_fma_f32 v25, 0xbf788fa5, v75, -v156
	v_add_f32_e32 v24, v25, v24
	v_fma_f32 v25, 0x3f62ad3f, v76, -v159
	s_delay_alu instid0(VALU_DEP_1) | instskip(SKIP_1) | instid1(VALU_DEP_1)
	v_add_f32_e32 v24, v25, v24
	v_fma_f32 v25, 0xbeb58ec6, v77, -v162
	v_add_f32_e32 v22, v25, v24
	v_fma_f32 v24, 0x3df6dbef, v71, -v176
	v_dual_add_f32 v25, v169, v26 :: v_dual_add_f32 v26, v34, v27
	v_fma_f32 v34, 0xbf788fa5, v72, -v179
	s_delay_alu instid0(VALU_DEP_3) | instskip(SKIP_1) | instid1(VALU_DEP_2)
	v_dual_add_f32 v27, v57, v170 :: v_dual_add_f32 v24, v56, v24
	v_add_f32_e32 v57, v57, v197
	v_dual_add_f32 v27, v173, v27 :: v_dual_add_f32 v24, v34, v24
	v_fma_f32 v34, 0xbeb58ec6, v73, -v182
	s_delay_alu instid0(VALU_DEP_3) | instskip(NEXT) | instid1(VALU_DEP_3)
	v_add_f32_e32 v57, v200, v57
	v_add_f32_e32 v27, v174, v27
	s_delay_alu instid0(VALU_DEP_3) | instskip(SKIP_1) | instid1(VALU_DEP_4)
	v_add_f32_e32 v24, v34, v24
	v_fma_f32 v34, 0x3f62ad3f, v75, -v181
	v_add_f32_e32 v57, v82, v57
	s_delay_alu instid0(VALU_DEP_2) | instskip(SKIP_1) | instid1(VALU_DEP_1)
	v_dual_add_f32 v27, v172, v27 :: v_dual_add_f32 v24, v34, v24
	v_fma_f32 v34, 0x3f116cb1, v76, -v178
	v_dual_add_f32 v27, v180, v27 :: v_dual_add_f32 v34, v34, v24
	v_add_f32_e32 v24, v35, v26
	v_add_f32_e32 v35, v194, v54
	v_fma_f32 v54, 0x3f62ad3f, v71, -v132
	s_delay_alu instid0(VALU_DEP_4) | instskip(SKIP_4) | instid1(VALU_DEP_3)
	v_add_f32_e32 v27, v183, v27
	v_add_f32_e32 v26, v55, v34
	v_fma_f32 v34, 0x3f116cb1, v71, -v189
	v_fma_f32 v55, 0xbeb58ec6, v72, -v193
	v_add_f32_e32 v54, v56, v54
	v_add_f32_e32 v34, v56, v34
	v_fma_f32 v56, 0x3f116cb1, v72, -v59
	s_delay_alu instid0(VALU_DEP_2) | instskip(SKIP_1) | instid1(VALU_DEP_3)
	v_add_f32_e32 v34, v55, v34
	v_fma_f32 v55, 0xbf788fa5, v73, -v196
	v_add_f32_e32 v54, v56, v54
	v_fma_f32 v56, 0x3df6dbef, v73, -v58
	s_delay_alu instid0(VALU_DEP_3) | instskip(SKIP_1) | instid1(VALU_DEP_3)
	v_add_f32_e32 v34, v55, v34
	v_fma_f32 v55, 0xbf3f9e67, v75, -v192
	v_add_f32_e32 v54, v56, v54
	v_add_f32_e32 v56, v115, v57
	v_lshl_add_u32 v57, v127, 3, v125
	s_delay_alu instid0(VALU_DEP_4) | instskip(NEXT) | instid1(VALU_DEP_4)
	v_add_f32_e32 v34, v55, v34
	v_add_f32_e32 v53, v53, v54
	v_fma_f32 v55, 0x3df6dbef, v76, -v191
	v_fma_f32 v54, 0x3f62ad3f, v77, -v177
	s_delay_alu instid0(VALU_DEP_2) | instskip(SKIP_2) | instid1(VALU_DEP_3)
	v_dual_add_f32 v53, v33, v53 :: v_dual_add_f32 v34, v55, v34
	v_add_f32_e32 v55, v129, v56
	v_fma_f32 v56, 0xbf788fa5, v77, -v32
	v_dual_add_f32 v33, v195, v35 :: v_dual_add_f32 v32, v54, v34
	s_delay_alu instid0(VALU_DEP_3) | instskip(NEXT) | instid1(VALU_DEP_3)
	v_add_f32_e32 v35, v52, v55
	v_add_f32_e32 v34, v56, v53
	ds_store_2addr_b64 v57, v[18:19], v[16:17] offset1:1
	ds_store_2addr_b64 v57, v[80:81], v[78:79] offset0:2 offset1:3
	ds_store_2addr_b64 v57, v[64:65], v[62:63] offset0:4 offset1:5
	ds_store_2addr_b64 v57, v[60:61], v[20:21] offset0:6 offset1:7
	ds_store_2addr_b64 v57, v[22:23], v[24:25] offset0:8 offset1:9
	ds_store_2addr_b64 v57, v[26:27], v[32:33] offset0:10 offset1:11
	ds_store_b64 v57, v[34:35] offset:96
.LBB0_13:
	s_wait_alu 0xfffe
	s_or_b32 exec_lo, exec_lo, s0
	global_wb scope:SCOPE_SE
	s_wait_dscnt 0x0
	s_barrier_signal -1
	s_barrier_wait -1
	global_inv scope:SCOPE_SE
	ds_load_2addr_b64 v[16:19], v117 offset0:26 offset1:39
	ds_load_2addr_b64 v[20:23], v117 offset0:78 offset1:91
	;; [unrolled: 1-line block ×5, first 2 shown]
	ds_load_2addr_b64 v[56:59], v117 offset1:13
	ds_load_2addr_b64 v[60:63], v117 offset0:130 offset1:143
	ds_load_b64 v[64:65], v117 offset:1456
	global_wb scope:SCOPE_SE
	s_wait_dscnt 0x0
	s_barrier_signal -1
	s_barrier_wait -1
	global_inv scope:SCOPE_SE
	s_mov_b32 s2, 0x15015015
	s_mov_b32 s3, 0x3f750150
	v_dual_mul_f32 v66, v9, v19 :: v_dual_mul_f32 v69, v11, v20
	v_dual_mul_f32 v67, v9, v18 :: v_dual_mul_f32 v68, v11, v21
	v_dual_mul_f32 v70, v1, v27 :: v_dual_mul_f32 v73, v3, v32
	v_dual_mul_f32 v71, v1, v26 :: v_dual_mul_f32 v72, v3, v33
	v_mul_f32_e32 v74, v9, v53
	v_dual_fmac_f32 v66, v8, v18 :: v_dual_mul_f32 v9, v9, v52
	v_fma_f32 v18, v8, v19, -v67
	v_fmac_f32_e32 v68, v10, v20
	v_fma_f32 v19, v10, v21, -v69
	v_fmac_f32_e32 v70, v0, v26
	;; [unrolled: 2-line block ×3, first 2 shown]
	v_fma_f32 v21, v2, v33, -v73
	v_fma_f32 v26, v8, v53, -v9
	v_dual_mul_f32 v27, v11, v23 :: v_dual_fmac_f32 v74, v8, v52
	v_mul_f32_e32 v8, v11, v22
	v_dual_mul_f32 v33, v3, v35 :: v_dual_mul_f32 v32, v1, v61
	v_mul_f32_e32 v1, v1, v60
	s_delay_alu instid0(VALU_DEP_4) | instskip(NEXT) | instid1(VALU_DEP_4)
	v_fmac_f32_e32 v27, v10, v22
	v_fma_f32 v22, v10, v23, -v8
	s_delay_alu instid0(VALU_DEP_4) | instskip(NEXT) | instid1(VALU_DEP_4)
	v_dual_fmac_f32 v33, v2, v34 :: v_dual_fmac_f32 v32, v0, v60
	v_fma_f32 v23, v0, v61, -v1
	v_mul_f32_e32 v0, v3, v34
	v_dual_mul_f32 v34, v13, v55 :: v_dual_mul_f32 v3, v15, v24
	v_mul_f32_e32 v1, v13, v54
	v_dual_sub_f32 v8, v72, v70 :: v_dual_add_f32 v11, v19, v20
	s_delay_alu instid0(VALU_DEP_3) | instskip(SKIP_1) | instid1(VALU_DEP_4)
	v_fmac_f32_e32 v34, v12, v54
	v_dual_mul_f32 v54, v5, v63 :: v_dual_add_f32 v9, v66, v72
	v_fma_f32 v53, v12, v55, -v1
	v_mul_f32_e32 v55, v7, v65
	v_mul_f32_e32 v1, v5, v62
	s_delay_alu instid0(VALU_DEP_4) | instskip(SKIP_1) | instid1(VALU_DEP_4)
	v_dual_mul_f32 v7, v7, v64 :: v_dual_fmac_f32 v54, v4, v62
	v_sub_f32_e32 v5, v19, v20
	v_fmac_f32_e32 v55, v6, v64
	v_fma_f32 v35, v2, v35, -v0
	v_add_f32_e32 v2, v56, v66
	v_mul_f32_e32 v52, v15, v25
	v_add_f32_e32 v0, v68, v70
	v_fma_f32 v60, v4, v63, -v1
	v_fma_f32 v25, v14, v25, -v3
	v_add_f32_e32 v1, v2, v68
	v_fmac_f32_e32 v52, v14, v24
	v_fma_f32 v0, -0.5, v0, v56
	v_sub_f32_e32 v3, v18, v21
	s_delay_alu instid0(VALU_DEP_4) | instskip(SKIP_1) | instid1(VALU_DEP_3)
	v_dual_sub_f32 v4, v66, v68 :: v_dual_add_f32 v1, v1, v70
	v_dual_sub_f32 v12, v68, v70 :: v_dual_add_f32 v15, v27, v32
	v_fmamk_f32 v2, v3, 0xbf737871, v0
	s_delay_alu instid0(VALU_DEP_3)
	v_add_f32_e32 v10, v4, v8
	v_fma_f32 v4, -0.5, v9, v56
	v_fma_f32 v56, v6, v65, -v7
	v_add_f32_e32 v6, v1, v72
	v_dual_fmac_f32 v0, 0x3f737871, v3 :: v_dual_sub_f32 v1, v68, v66
	v_sub_f32_e32 v7, v70, v72
	v_dual_add_f32 v9, v57, v18 :: v_dual_fmac_f32 v2, 0xbf167918, v5
	v_fmamk_f32 v8, v5, 0x3f737871, v4
	v_sub_f32_e32 v13, v21, v20
	s_delay_alu instid0(VALU_DEP_4) | instskip(SKIP_4) | instid1(VALU_DEP_3)
	v_add_f32_e32 v7, v1, v7
	v_fma_f32 v1, -0.5, v11, v57
	v_dual_sub_f32 v11, v66, v72 :: v_dual_fmac_f32 v0, 0x3f167918, v5
	v_dual_fmac_f32 v4, 0xbf737871, v5 :: v_dual_add_f32 v5, v9, v19
	v_fmac_f32_e32 v2, 0x3e9e377a, v10
	v_fmac_f32_e32 v0, 0x3e9e377a, v10
	s_delay_alu instid0(VALU_DEP_3) | instskip(SKIP_3) | instid1(VALU_DEP_3)
	v_dual_fmac_f32 v4, 0x3f167918, v3 :: v_dual_add_f32 v9, v5, v20
	v_dual_add_f32 v5, v18, v21 :: v_dual_fmac_f32 v8, 0xbf167918, v3
	v_fmamk_f32 v3, v11, 0x3f737871, v1
	v_fmac_f32_e32 v1, 0xbf737871, v11
	v_fma_f32 v5, -0.5, v5, v57
	s_delay_alu instid0(VALU_DEP_3) | instskip(NEXT) | instid1(VALU_DEP_3)
	v_dual_sub_f32 v10, v18, v19 :: v_dual_fmac_f32 v3, 0x3f167918, v12
	v_fmac_f32_e32 v1, 0xbf167918, v12
	s_delay_alu instid0(VALU_DEP_2) | instskip(SKIP_2) | instid1(VALU_DEP_3)
	v_dual_add_f32 v13, v10, v13 :: v_dual_fmac_f32 v8, 0x3e9e377a, v7
	v_dual_fmac_f32 v4, 0x3e9e377a, v7 :: v_dual_add_f32 v7, v9, v21
	v_fmamk_f32 v9, v12, 0xbf737871, v5
	v_dual_fmac_f32 v1, 0x3e9e377a, v13 :: v_dual_sub_f32 v10, v19, v18
	v_dual_sub_f32 v14, v20, v21 :: v_dual_fmac_f32 v5, 0x3f737871, v12
	s_delay_alu instid0(VALU_DEP_3) | instskip(NEXT) | instid1(VALU_DEP_2)
	v_dual_fmac_f32 v9, 0x3f167918, v11 :: v_dual_add_f32 v18, v58, v74
	v_dual_fmac_f32 v3, 0x3e9e377a, v13 :: v_dual_add_f32 v14, v10, v14
	v_fma_f32 v10, -0.5, v15, v58
	v_dual_sub_f32 v15, v26, v35 :: v_dual_sub_f32 v20, v33, v32
	v_fmac_f32_e32 v5, 0xbf167918, v11
	v_add_f32_e32 v13, v18, v27
	v_dual_fmac_f32 v9, 0x3e9e377a, v14 :: v_dual_sub_f32 v18, v74, v27
	s_delay_alu instid0(VALU_DEP_4) | instskip(NEXT) | instid1(VALU_DEP_4)
	v_fmamk_f32 v12, v15, 0xbf737871, v10
	v_fmac_f32_e32 v5, 0x3e9e377a, v14
	s_delay_alu instid0(VALU_DEP_4) | instskip(NEXT) | instid1(VALU_DEP_1)
	v_dual_add_f32 v11, v13, v32 :: v_dual_fmac_f32 v10, 0x3f737871, v15
	v_dual_sub_f32 v19, v22, v23 :: v_dual_add_f32 v14, v11, v33
	s_delay_alu instid0(VALU_DEP_1) | instskip(NEXT) | instid1(VALU_DEP_3)
	v_dual_add_f32 v21, v74, v33 :: v_dual_fmac_f32 v12, 0xbf167918, v19
	v_dual_sub_f32 v11, v27, v74 :: v_dual_fmac_f32 v10, 0x3f167918, v19
	s_delay_alu instid0(VALU_DEP_2) | instskip(SKIP_3) | instid1(VALU_DEP_4)
	v_fma_f32 v58, -0.5, v21, v58
	v_add_f32_e32 v21, v59, v26
	v_dual_add_f32 v13, v18, v20 :: v_dual_sub_f32 v20, v32, v33
	v_add_f32_e32 v24, v22, v23
	v_fmamk_f32 v18, v19, 0x3f737871, v58
	s_delay_alu instid0(VALU_DEP_4) | instskip(NEXT) | instid1(VALU_DEP_4)
	v_dual_fmac_f32 v58, 0xbf737871, v19 :: v_dual_add_f32 v19, v21, v22
	v_dual_sub_f32 v21, v74, v33 :: v_dual_add_f32 v20, v11, v20
	s_delay_alu instid0(VALU_DEP_3) | instskip(SKIP_4) | instid1(VALU_DEP_4)
	v_fmac_f32_e32 v18, 0xbf167918, v15
	v_fma_f32 v11, -0.5, v24, v59
	v_fmac_f32_e32 v12, 0x3e9e377a, v13
	v_fmac_f32_e32 v10, 0x3e9e377a, v13
	v_dual_sub_f32 v24, v27, v32 :: v_dual_sub_f32 v27, v26, v22
	v_fmamk_f32 v13, v21, 0x3f737871, v11
	v_fmac_f32_e32 v18, 0x3e9e377a, v20
	v_fmac_f32_e32 v58, 0x3f167918, v15
	v_add_f32_e32 v15, v19, v23
	v_add_f32_e32 v19, v26, v35
	v_dual_sub_f32 v32, v35, v23 :: v_dual_fmac_f32 v11, 0xbf737871, v21
	s_delay_alu instid0(VALU_DEP_3) | instskip(NEXT) | instid1(VALU_DEP_3)
	v_add_f32_e32 v15, v15, v35
	v_fmac_f32_e32 v59, -0.5, v19
	v_fmac_f32_e32 v13, 0x3f167918, v24
	v_fmac_f32_e32 v58, 0x3e9e377a, v20
	v_dual_add_f32 v27, v27, v32 :: v_dual_sub_f32 v20, v22, v26
	s_delay_alu instid0(VALU_DEP_4) | instskip(SKIP_2) | instid1(VALU_DEP_4)
	v_dual_fmamk_f32 v19, v24, 0xbf737871, v59 :: v_dual_sub_f32 v22, v23, v35
	v_fmac_f32_e32 v11, 0xbf167918, v24
	v_add_f32_e32 v23, v52, v54
	v_fmac_f32_e32 v13, 0x3e9e377a, v27
	s_delay_alu instid0(VALU_DEP_4)
	v_dual_fmac_f32 v19, 0x3f167918, v21 :: v_dual_sub_f32 v32, v55, v54
	v_dual_add_f32 v26, v20, v22 :: v_dual_fmac_f32 v59, 0x3f737871, v24
	v_add_f32_e32 v22, v16, v34
	v_sub_f32_e32 v24, v34, v52
	v_fma_f32 v20, -0.5, v23, v16
	v_fmac_f32_e32 v11, 0x3e9e377a, v27
	v_sub_f32_e32 v27, v25, v60
	v_sub_f32_e32 v23, v53, v56
	v_fmac_f32_e32 v59, 0xbf167918, v21
	v_add_f32_e32 v21, v22, v52
	v_add_f32_e32 v32, v24, v32
	s_delay_alu instid0(VALU_DEP_4) | instskip(NEXT) | instid1(VALU_DEP_1)
	v_fmamk_f32 v22, v23, 0xbf737871, v20
	v_fmac_f32_e32 v22, 0xbf167918, v27
	v_fmac_f32_e32 v20, 0x3f737871, v23
	v_add_f32_e32 v33, v34, v55
	s_delay_alu instid0(VALU_DEP_3) | instskip(NEXT) | instid1(VALU_DEP_3)
	v_dual_add_f32 v21, v21, v54 :: v_dual_fmac_f32 v22, 0x3e9e377a, v32
	v_fmac_f32_e32 v20, 0x3f167918, v27
	s_delay_alu instid0(VALU_DEP_3) | instskip(NEXT) | instid1(VALU_DEP_3)
	v_fma_f32 v16, -0.5, v33, v16
	v_dual_fmac_f32 v19, 0x3e9e377a, v26 :: v_dual_add_f32 v24, v21, v55
	v_add_f32_e32 v21, v25, v60
	s_delay_alu instid0(VALU_DEP_4)
	v_dual_fmac_f32 v20, 0x3e9e377a, v32 :: v_dual_sub_f32 v33, v54, v55
	v_sub_f32_e32 v32, v52, v34
	v_dual_fmac_f32 v59, 0x3e9e377a, v26 :: v_dual_sub_f32 v34, v34, v55
	v_fmamk_f32 v26, v27, 0x3f737871, v16
	v_dual_fmac_f32 v16, 0xbf737871, v27 :: v_dual_add_f32 v27, v17, v53
	v_fma_f32 v21, -0.5, v21, v17
	v_dual_add_f32 v32, v32, v33 :: v_dual_add_f32 v33, v53, v56
	s_delay_alu instid0(VALU_DEP_3) | instskip(NEXT) | instid1(VALU_DEP_4)
	v_fmac_f32_e32 v16, 0x3f167918, v23
	v_dual_fmac_f32 v26, 0xbf167918, v23 :: v_dual_add_f32 v27, v27, v25
	s_delay_alu instid0(VALU_DEP_4) | instskip(NEXT) | instid1(VALU_DEP_3)
	v_fmamk_f32 v23, v34, 0x3f737871, v21
	v_dual_sub_f32 v35, v52, v54 :: v_dual_fmac_f32 v16, 0x3e9e377a, v32
	s_delay_alu instid0(VALU_DEP_3) | instskip(NEXT) | instid1(VALU_DEP_2)
	v_dual_fmac_f32 v17, -0.5, v33 :: v_dual_fmac_f32 v26, 0x3e9e377a, v32
	v_dual_add_f32 v32, v27, v60 :: v_dual_fmac_f32 v23, 0x3f167918, v35
	v_dual_sub_f32 v52, v56, v60 :: v_dual_sub_f32 v33, v53, v25
	v_fmac_f32_e32 v21, 0xbf737871, v34
	s_delay_alu instid0(VALU_DEP_4)
	v_fmamk_f32 v27, v35, 0xbf737871, v17
	v_sub_f32_e32 v25, v25, v53
	v_sub_f32_e32 v53, v60, v56
	v_fmac_f32_e32 v17, 0x3f737871, v35
	v_add_f32_e32 v33, v33, v52
	v_fmac_f32_e32 v21, 0xbf167918, v35
	v_fmac_f32_e32 v27, 0x3f167918, v34
	v_add_f32_e32 v35, v25, v53
	v_fmac_f32_e32 v17, 0xbf167918, v34
	v_fmac_f32_e32 v23, 0x3e9e377a, v33
	v_fmac_f32_e32 v21, 0x3e9e377a, v33
	v_add_f32_e32 v25, v32, v56
	v_fmac_f32_e32 v27, 0x3e9e377a, v35
	v_fmac_f32_e32 v17, 0x3e9e377a, v35
	ds_store_2addr_b64 v117, v[6:7], v[2:3] offset1:13
	ds_store_2addr_b64 v117, v[8:9], v[4:5] offset0:26 offset1:39
	ds_store_2addr_b64 v117, v[0:1], v[14:15] offset0:52 offset1:65
	;; [unrolled: 1-line block ×6, first 2 shown]
	ds_store_b64 v128, v[20:21] offset:1456
	global_wb scope:SCOPE_SE
	s_wait_dscnt 0x0
	s_barrier_signal -1
	s_barrier_wait -1
	global_inv scope:SCOPE_SE
	ds_load_2addr_b64 v[0:3], v117 offset0:52 offset1:65
	ds_load_2addr_b64 v[4:7], v117 offset0:130 offset1:143
	;; [unrolled: 1-line block ×3, first 2 shown]
	ds_load_2addr_b64 v[12:15], v117 offset1:13
	ds_load_2addr_b64 v[16:19], v117 offset0:26 offset1:39
	ds_load_2addr_b64 v[20:23], v117 offset0:156 offset1:169
	;; [unrolled: 1-line block ×3, first 2 shown]
	ds_load_b64 v[32:33], v117 offset:1456
	s_wait_dscnt 0x7
	v_mul_f32_e32 v34, v49, v3
	v_mul_f32_e32 v35, v49, v2
	s_wait_dscnt 0x6
	s_delay_alu instid0(VALU_DEP_2) | instskip(SKIP_1) | instid1(VALU_DEP_3)
	v_dual_fmac_f32 v34, v48, v2 :: v_dual_mul_f32 v49, v51, v5
	v_mul_f32_e32 v2, v51, v4
	v_fma_f32 v3, v48, v3, -v35
	s_wait_dscnt 0x5
	v_mul_f32_e32 v35, v45, v9
	s_delay_alu instid0(VALU_DEP_3) | instskip(SKIP_2) | instid1(VALU_DEP_4)
	v_fma_f32 v5, v50, v5, -v2
	v_fmac_f32_e32 v49, v50, v4
	v_mul_f32_e32 v4, v45, v8
	v_dual_fmac_f32 v35, v44, v8 :: v_dual_mul_f32 v2, v47, v6
	s_delay_alu instid0(VALU_DEP_4) | instskip(SKIP_1) | instid1(VALU_DEP_4)
	v_sub_f32_e32 v8, v3, v5
	v_mul_f32_e32 v45, v47, v7
	v_fma_f32 v9, v44, v9, -v4
	v_mul_f32_e32 v44, v41, v11
	v_mul_f32_e32 v4, v41, v10
	v_fma_f32 v41, v46, v7, -v2
	s_wait_dscnt 0x2
	v_dual_fmac_f32 v45, v46, v6 :: v_dual_mul_f32 v46, v43, v21
	v_fmac_f32_e32 v44, v40, v10
	v_add_f32_e32 v10, v13, v3
	v_mul_f32_e32 v2, v43, v20
	v_fma_f32 v40, v40, v11, -v4
	s_wait_dscnt 0x1
	v_mul_f32_e32 v43, v37, v25
	v_dual_mul_f32 v4, v37, v24 :: v_dual_mul_f32 v37, v39, v23
	v_fma_f32 v21, v42, v21, -v2
	s_delay_alu instid0(VALU_DEP_3) | instskip(NEXT) | instid1(VALU_DEP_3)
	v_dual_mul_f32 v2, v39, v22 :: v_dual_fmac_f32 v43, v36, v24
	v_fma_f32 v24, v36, v25, -v4
	v_mul_f32_e32 v36, v29, v27
	v_mul_f32_e32 v4, v29, v26
	s_delay_alu instid0(VALU_DEP_4)
	v_fma_f32 v23, v38, v23, -v2
	s_wait_dscnt 0x0
	v_mul_f32_e32 v2, v31, v32
	v_add_f32_e32 v6, v12, v34
	v_fmac_f32_e32 v36, v28, v26
	v_fma_f32 v26, v28, v27, -v4
	v_add_f32_e32 v4, v34, v49
	v_fma_f32 v27, v30, v33, -v2
	v_fmac_f32_e32 v46, v42, v20
	v_dual_sub_f32 v11, v34, v49 :: v_dual_add_f32 v20, v16, v44
	s_delay_alu instid0(VALU_DEP_4) | instskip(SKIP_3) | instid1(VALU_DEP_4)
	v_fma_f32 v2, -0.5, v4, v12
	v_add_f32_e32 v4, v6, v49
	v_mul_f32_e32 v29, v31, v33
	v_sub_f32_e32 v12, v9, v41
	v_dual_add_f32 v7, v3, v5 :: v_dual_fmamk_f32 v6, v8, 0xbf5db3d7, v2
	v_fmac_f32_e32 v2, 0x3f5db3d7, v8
	v_add_f32_e32 v8, v35, v45
	v_add_f32_e32 v5, v10, v5
	;; [unrolled: 1-line block ×3, first 2 shown]
	v_dual_fmac_f32 v29, v30, v32 :: v_dual_sub_f32 v30, v24, v23
	s_delay_alu instid0(VALU_DEP_4) | instskip(SKIP_1) | instid1(VALU_DEP_4)
	v_fma_f32 v14, -0.5, v8, v14
	v_fmac_f32_e32 v37, v38, v22
	v_add_f32_e32 v8, v10, v45
	v_sub_f32_e32 v22, v40, v21
	v_sub_f32_e32 v28, v44, v46
	v_fmamk_f32 v10, v12, 0xbf5db3d7, v14
	v_fmac_f32_e32 v14, 0x3f5db3d7, v12
	v_fma_f32 v3, -0.5, v7, v13
	v_dual_add_f32 v12, v44, v46 :: v_dual_sub_f32 v13, v35, v45
	v_add_f32_e32 v25, v17, v40
	v_add_f32_e32 v31, v0, v36
	s_delay_alu instid0(VALU_DEP_4)
	v_fmamk_f32 v7, v11, 0x3f5db3d7, v3
	v_fmac_f32_e32 v3, 0xbf5db3d7, v11
	v_fma_f32 v12, -0.5, v12, v16
	v_add_f32_e32 v11, v9, v41
	v_dual_add_f32 v9, v15, v9 :: v_dual_add_f32 v16, v20, v46
	v_add_f32_e32 v32, v1, v26
	s_delay_alu instid0(VALU_DEP_4) | instskip(NEXT) | instid1(VALU_DEP_4)
	v_fmamk_f32 v20, v22, 0xbf5db3d7, v12
	v_dual_fmac_f32 v12, 0x3f5db3d7, v22 :: v_dual_fmac_f32 v15, -0.5, v11
	s_delay_alu instid0(VALU_DEP_4) | instskip(SKIP_2) | instid1(VALU_DEP_4)
	v_add_f32_e32 v9, v9, v41
	v_add_f32_e32 v22, v43, v37
	v_sub_f32_e32 v33, v36, v29
	v_fmamk_f32 v11, v13, 0x3f5db3d7, v15
	v_fmac_f32_e32 v15, 0xbf5db3d7, v13
	v_add_f32_e32 v13, v40, v21
	s_delay_alu instid0(VALU_DEP_1) | instskip(SKIP_3) | instid1(VALU_DEP_4)
	v_fma_f32 v13, -0.5, v13, v17
	v_add_f32_e32 v17, v25, v21
	v_add_f32_e32 v25, v18, v43
	v_fma_f32 v18, -0.5, v22, v18
	v_fmamk_f32 v21, v28, 0x3f5db3d7, v13
	v_dual_fmac_f32 v13, 0xbf5db3d7, v28 :: v_dual_add_f32 v28, v24, v23
	s_delay_alu instid0(VALU_DEP_4) | instskip(NEXT) | instid1(VALU_DEP_4)
	v_dual_add_f32 v22, v25, v37 :: v_dual_add_f32 v25, v19, v24
	v_fmamk_f32 v24, v30, 0xbf5db3d7, v18
	s_delay_alu instid0(VALU_DEP_3) | instskip(SKIP_2) | instid1(VALU_DEP_1)
	v_dual_fmac_f32 v18, 0x3f5db3d7, v30 :: v_dual_fmac_f32 v19, -0.5, v28
	v_sub_f32_e32 v28, v43, v37
	v_add_f32_e32 v30, v36, v29
	v_fma_f32 v0, -0.5, v30, v0
	v_sub_f32_e32 v30, v26, v27
	v_add_f32_e32 v23, v25, v23
	v_fmamk_f32 v25, v28, 0x3f5db3d7, v19
	v_dual_fmac_f32 v19, 0xbf5db3d7, v28 :: v_dual_add_f32 v28, v26, v27
	v_dual_add_f32 v26, v31, v29 :: v_dual_add_f32 v27, v32, v27
	s_delay_alu instid0(VALU_DEP_2) | instskip(NEXT) | instid1(VALU_DEP_1)
	v_dual_fmac_f32 v1, -0.5, v28 :: v_dual_fmamk_f32 v28, v30, 0xbf5db3d7, v0
	v_dual_fmac_f32 v0, 0x3f5db3d7, v30 :: v_dual_fmamk_f32 v29, v33, 0x3f5db3d7, v1
	v_fmac_f32_e32 v1, 0xbf5db3d7, v33
	ds_store_b64 v117, v[4:5]
	ds_store_2addr_b64 v126, v[6:7], v[10:11] offset0:65 offset1:78
	ds_store_2addr_b64 v126, v[2:3], v[14:15] offset0:130 offset1:143
	;; [unrolled: 1-line block ×7, first 2 shown]
	global_wb scope:SCOPE_SE
	s_wait_dscnt 0x0
	s_barrier_signal -1
	s_barrier_wait -1
	global_inv scope:SCOPE_SE
	ds_load_2addr_b64 v[0:3], v117 offset1:15
	v_mad_co_u64_u32 v[18:19], null, s6, v102, 0
	v_mad_co_u64_u32 v[20:21], null, s4, v124, 0
	s_wait_dscnt 0x0
	v_mul_f32_e32 v4, v110, v1
	v_dual_mul_f32 v5, v110, v0 :: v_dual_mul_f32 v8, v112, v2
	s_delay_alu instid0(VALU_DEP_2) | instskip(SKIP_1) | instid1(VALU_DEP_3)
	v_fmac_f32_e32 v4, v109, v0
	v_mul_f32_e32 v0, v112, v3
	v_fma_f32 v1, v109, v1, -v5
	s_delay_alu instid0(VALU_DEP_3) | instskip(NEXT) | instid1(VALU_DEP_3)
	v_cvt_f64_f32_e32 v[4:5], v4
	v_fmac_f32_e32 v0, v111, v2
	s_delay_alu instid0(VALU_DEP_3) | instskip(SKIP_1) | instid1(VALU_DEP_3)
	v_cvt_f64_f32_e32 v[6:7], v1
	v_fma_f32 v1, v111, v3, -v8
	v_cvt_f64_f32_e32 v[8:9], v0
	s_delay_alu instid0(VALU_DEP_2)
	v_cvt_f64_f32_e32 v[10:11], v1
	ds_load_2addr_b64 v[0:3], v117 offset0:30 offset1:45
	s_wait_alu 0xfffe
	v_mul_f64_e32 v[12:13], s[2:3], v[4:5]
	s_wait_dscnt 0x0
	v_mul_f32_e32 v4, v108, v1
	v_mul_f64_e32 v[14:15], s[2:3], v[6:7]
	v_mov_b32_e32 v5, v21
	v_mul_f64_e32 v[8:9], s[2:3], v[8:9]
	s_delay_alu instid0(VALU_DEP_4) | instskip(SKIP_2) | instid1(VALU_DEP_3)
	v_fmac_f32_e32 v4, v107, v0
	v_mul_f32_e32 v0, v108, v0
	v_mul_f64_e32 v[10:11], s[2:3], v[10:11]
	v_cvt_f64_f32_e32 v[16:17], v4
	v_mov_b32_e32 v4, v19
	s_delay_alu instid0(VALU_DEP_4) | instskip(NEXT) | instid1(VALU_DEP_2)
	v_fma_f32 v0, v107, v1, -v0
	v_mad_co_u64_u32 v[21:22], null, s7, v102, v[4:5]
	v_mad_co_u64_u32 v[22:23], null, s5, v124, v[5:6]
	ds_load_2addr_b64 v[4:7], v117 offset0:60 offset1:75
	v_mul_f32_e32 v1, v104, v3
	v_cvt_f64_f32_e32 v[26:27], v0
	v_dual_mul_f32 v0, v104, v2 :: v_dual_mov_b32 v19, v21
	s_mul_u64 s[6:7], s[4:5], 0x78
	v_mov_b32_e32 v21, v22
	s_delay_alu instid0(VALU_DEP_2) | instskip(NEXT) | instid1(VALU_DEP_3)
	v_fma_f32 v0, v103, v3, -v0
	v_lshlrev_b64_e32 v[18:19], 3, v[18:19]
	v_cvt_f32_f64_e32 v22, v[12:13]
	v_cvt_f32_f64_e32 v23, v[14:15]
	s_wait_dscnt 0x0
	v_dual_mul_f32 v12, v106, v5 :: v_dual_fmac_f32 v1, v103, v2
	v_mul_f32_e32 v2, v106, v4
	v_cvt_f32_f64_e32 v24, v[8:9]
	v_cvt_f32_f64_e32 v25, v[10:11]
	ds_load_2addr_b64 v[8:11], v117 offset0:90 offset1:105
	v_fmac_f32_e32 v12, v105, v4
	v_cvt_f64_f32_e32 v[28:29], v1
	v_fma_f32 v14, v105, v5, -v2
	v_cvt_f64_f32_e32 v[4:5], v0
	ds_load_2addr_b64 v[0:3], v117 offset0:120 offset1:135
	v_cvt_f64_f32_e32 v[30:31], v12
	v_mul_f64_e32 v[16:17], s[2:3], v[16:17]
	v_cvt_f64_f32_e32 v[32:33], v14
	v_lshlrev_b64_e32 v[20:21], 3, v[20:21]
	v_mul_f64_e32 v[26:27], s[2:3], v[26:27]
	s_wait_dscnt 0x1
	v_dual_mul_f32 v36, v95, v9 :: v_dual_mul_f32 v39, v97, v10
	v_mul_f32_e32 v13, v91, v7
	v_dual_mul_f32 v38, v97, v11 :: v_dual_mul_f32 v37, v95, v8
	s_delay_alu instid0(VALU_DEP_3) | instskip(NEXT) | instid1(VALU_DEP_4)
	v_fmac_f32_e32 v36, v94, v8
	v_fma_f32 v40, v96, v11, -v39
	s_delay_alu instid0(VALU_DEP_4) | instskip(NEXT) | instid1(VALU_DEP_4)
	v_fmac_f32_e32 v13, v90, v6
	v_fmac_f32_e32 v38, v96, v10
	v_fma_f32 v37, v94, v9, -v37
	v_mul_f32_e32 v6, v91, v6
	v_cvt_f64_f32_e32 v[8:9], v36
	v_cvt_f64_f32_e32 v[34:35], v13
	ds_load_2addr_b64 v[12:15], v117 offset0:150 offset1:165
	v_cvt_f64_f32_e32 v[10:11], v37
	v_cvt_f64_f32_e32 v[36:37], v38
	ds_load_b64 v[38:39], v117 offset:1440
	v_fma_f32 v6, v90, v7, -v6
	s_wait_dscnt 0x2
	v_dual_mul_f32 v42, v87, v1 :: v_dual_mul_f32 v45, v93, v2
	v_dual_mul_f32 v43, v87, v0 :: v_dual_mul_f32 v44, v93, v3
	s_delay_alu instid0(VALU_DEP_3) | instskip(NEXT) | instid1(VALU_DEP_3)
	v_cvt_f64_f32_e32 v[6:7], v6
	v_fmac_f32_e32 v42, v86, v0
	v_cvt_f64_f32_e32 v[40:41], v40
	s_delay_alu instid0(VALU_DEP_4) | instskip(SKIP_4) | instid1(VALU_DEP_4)
	v_fma_f32 v43, v86, v1, -v43
	v_fmac_f32_e32 v44, v92, v2
	v_fma_f32 v2, v92, v3, -v45
	v_mul_f64_e32 v[4:5], s[2:3], v[4:5]
	v_cvt_f32_f64_e32 v16, v[16:17]
	v_cvt_f64_f32_e32 v[44:45], v44
	s_delay_alu instid0(VALU_DEP_4)
	v_cvt_f64_f32_e32 v[46:47], v2
	s_wait_dscnt 0x1
	v_dual_mul_f32 v48, v89, v13 :: v_dual_mul_f32 v3, v99, v15
	v_mul_f32_e32 v2, v89, v12
	s_wait_dscnt 0x0
	v_mul_f32_e32 v50, v101, v39
	s_delay_alu instid0(VALU_DEP_3)
	v_dual_mul_f32 v51, v101, v38 :: v_dual_fmac_f32 v48, v88, v12
	v_fmac_f32_e32 v3, v98, v14
	v_mul_f32_e32 v12, v99, v14
	v_fma_f32 v2, v88, v13, -v2
	v_fmac_f32_e32 v50, v100, v38
	v_fma_f32 v53, v100, v39, -v51
	v_cvt_f64_f32_e32 v[0:1], v42
	v_fma_f32 v52, v98, v15, -v12
	v_cvt_f64_f32_e32 v[42:43], v43
	v_cvt_f64_f32_e32 v[48:49], v48
	;; [unrolled: 1-line block ×7, first 2 shown]
	v_add_co_u32 v2, s0, s10, v18
	s_wait_alu 0xf1ff
	v_add_co_ci_u32_e64 v3, s0, s11, v19, s0
	v_mul_f64_e32 v[18:19], s[2:3], v[28:29]
	v_mul_f64_e32 v[28:29], s[2:3], v[30:31]
	;; [unrolled: 1-line block ×7, first 2 shown]
	v_add_co_u32 v20, s0, v2, v20
	s_wait_alu 0xf1ff
	v_add_co_ci_u32_e64 v21, s0, v3, v21, s0
	v_cvt_f32_f64_e32 v17, v[26:27]
	s_wait_alu 0xfffe
	v_add_co_u32 v32, s0, v20, s6
	s_wait_alu 0xf1ff
	v_add_co_ci_u32_e64 v33, s0, s7, v21, s0
	s_clause 0x1
	global_store_b64 v[20:21], v[22:23], off
	global_store_b64 v[32:33], v[24:25], off
	v_mul_f64_e32 v[20:21], s[2:3], v[36:37]
	v_mul_f64_e32 v[22:23], s[2:3], v[40:41]
	;; [unrolled: 1-line block ×4, first 2 shown]
	v_add_co_u32 v26, s0, v32, s6
	v_mul_f64_e32 v[0:1], s[2:3], v[0:1]
	s_wait_alu 0xf1ff
	v_add_co_ci_u32_e64 v27, s0, s7, v33, s0
	v_mul_f64_e32 v[24:25], s[2:3], v[42:43]
	v_mul_f64_e32 v[42:43], s[2:3], v[48:49]
	;; [unrolled: 1-line block ×7, first 2 shown]
	v_cvt_f32_f64_e32 v18, v[18:19]
	v_cvt_f32_f64_e32 v19, v[4:5]
	;; [unrolled: 1-line block ×6, first 2 shown]
	v_add_co_u32 v4, s0, v26, s6
	s_wait_alu 0xf1ff
	v_add_co_ci_u32_e64 v5, s0, s7, v27, s0
	v_cvt_f32_f64_e32 v6, v[8:9]
	v_cvt_f32_f64_e32 v7, v[10:11]
	v_add_co_u32 v30, s0, v4, s6
	s_wait_alu 0xf1ff
	v_add_co_ci_u32_e64 v31, s0, s7, v5, s0
	global_store_b64 v[26:27], v[16:17], off
	v_add_co_u32 v8, s0, v30, s6
	s_wait_alu 0xf1ff
	v_add_co_ci_u32_e64 v9, s0, s7, v31, s0
	v_cvt_f32_f64_e32 v10, v[20:21]
	v_cvt_f32_f64_e32 v11, v[22:23]
	v_cvt_f32_f64_e32 v22, v[36:37]
	v_cvt_f32_f64_e32 v23, v[40:41]
	v_cvt_f32_f64_e32 v20, v[0:1]
	v_add_co_u32 v0, s0, v8, s6
	v_cvt_f32_f64_e32 v21, v[24:25]
	v_cvt_f32_f64_e32 v24, v[42:43]
	;; [unrolled: 1-line block ×5, first 2 shown]
	s_wait_alu 0xf1ff
	v_add_co_ci_u32_e64 v1, s0, s7, v9, s0
	v_cvt_f32_f64_e32 v14, v[44:45]
	v_cvt_f32_f64_e32 v15, v[46:47]
	v_add_co_u32 v16, s0, v0, s6
	s_wait_alu 0xf1ff
	v_add_co_ci_u32_e64 v17, s0, s7, v1, s0
	global_store_b64 v[4:5], v[18:19], off
	v_add_co_u32 v4, s0, v16, s6
	s_wait_alu 0xf1ff
	v_add_co_ci_u32_e64 v5, s0, s7, v17, s0
	global_store_b64 v[30:31], v[28:29], off
	;; [unrolled: 4-line block ×6, first 2 shown]
	global_store_b64 v[18:19], v[22:23], off
	global_store_b64 v[8:9], v[24:25], off
	;; [unrolled: 1-line block ×4, first 2 shown]
	s_and_b32 exec_lo, exec_lo, vcc_lo
	s_cbranch_execz .LBB0_15
; %bb.14:
	global_load_b64 v[4:5], v[84:85], off offset:104
	ds_load_b64 v[6:7], v126 offset:104
	v_mad_co_u64_u32 v[0:1], null, 0xfffffac8, s4, v[0:1]
	s_mul_i32 s0, s5, 0xfffffac8
	s_wait_alu 0xfffe
	s_sub_co_i32 s0, s0, s4
	s_wait_alu 0xfffe
	s_delay_alu instid0(VALU_DEP_1) | instskip(SKIP_4) | instid1(VALU_DEP_2)
	v_add_nc_u32_e32 v1, s0, v1
	s_mul_u64 s[0:1], s[4:5], 0xf0
	s_wait_loadcnt_dscnt 0x0
	v_mul_f32_e32 v8, v7, v5
	v_mul_f32_e32 v5, v6, v5
	v_fmac_f32_e32 v8, v6, v4
	s_delay_alu instid0(VALU_DEP_2) | instskip(NEXT) | instid1(VALU_DEP_2)
	v_fma_f32 v6, v4, v7, -v5
	v_cvt_f64_f32_e32 v[4:5], v8
	s_delay_alu instid0(VALU_DEP_2) | instskip(NEXT) | instid1(VALU_DEP_2)
	v_cvt_f64_f32_e32 v[6:7], v6
	v_mul_f64_e32 v[4:5], s[2:3], v[4:5]
	s_delay_alu instid0(VALU_DEP_2) | instskip(NEXT) | instid1(VALU_DEP_2)
	v_mul_f64_e32 v[6:7], s[2:3], v[6:7]
	v_cvt_f32_f64_e32 v4, v[4:5]
	s_delay_alu instid0(VALU_DEP_2)
	v_cvt_f32_f64_e32 v5, v[6:7]
	global_store_b64 v[0:1], v[4:5], off
	global_load_b64 v[8:9], v[84:85], off offset:224
	ds_load_2addr_b64 v[4:7], v117 offset0:28 offset1:43
	s_wait_loadcnt_dscnt 0x0
	v_mul_f32_e32 v10, v5, v9
	v_mul_f32_e32 v9, v4, v9
	s_delay_alu instid0(VALU_DEP_2) | instskip(NEXT) | instid1(VALU_DEP_2)
	v_fmac_f32_e32 v10, v4, v8
	v_fma_f32 v8, v8, v5, -v9
	s_delay_alu instid0(VALU_DEP_2) | instskip(NEXT) | instid1(VALU_DEP_2)
	v_cvt_f64_f32_e32 v[4:5], v10
	v_cvt_f64_f32_e32 v[8:9], v8
	v_mad_co_u64_u32 v[10:11], null, s4, v123, 0
	s_delay_alu instid0(VALU_DEP_3) | instskip(NEXT) | instid1(VALU_DEP_3)
	v_mul_f64_e32 v[4:5], s[2:3], v[4:5]
	v_mul_f64_e32 v[8:9], s[2:3], v[8:9]
	s_delay_alu instid0(VALU_DEP_2) | instskip(NEXT) | instid1(VALU_DEP_2)
	v_cvt_f32_f64_e32 v4, v[4:5]
	v_cvt_f32_f64_e32 v5, v[8:9]
	v_mov_b32_e32 v8, v11
	s_delay_alu instid0(VALU_DEP_1) | instskip(NEXT) | instid1(VALU_DEP_1)
	v_mad_co_u64_u32 v[8:9], null, s5, v123, v[8:9]
	v_mov_b32_e32 v11, v8
	s_delay_alu instid0(VALU_DEP_1) | instskip(NEXT) | instid1(VALU_DEP_1)
	v_lshlrev_b64_e32 v[8:9], 3, v[10:11]
	v_add_co_u32 v8, vcc_lo, v2, v8
	s_wait_alu 0xfffd
	s_delay_alu instid0(VALU_DEP_2)
	v_add_co_ci_u32_e32 v9, vcc_lo, v3, v9, vcc_lo
	s_wait_alu 0xfffe
	v_add_co_u32 v0, vcc_lo, v0, s0
	s_wait_alu 0xfffd
	v_add_co_ci_u32_e32 v1, vcc_lo, s1, v1, vcc_lo
	global_store_b64 v[8:9], v[4:5], off
	global_load_b64 v[4:5], v[84:85], off offset:344
	s_wait_loadcnt 0x0
	v_mul_f32_e32 v8, v7, v5
	v_mul_f32_e32 v5, v6, v5
	s_delay_alu instid0(VALU_DEP_2) | instskip(NEXT) | instid1(VALU_DEP_2)
	v_fmac_f32_e32 v8, v6, v4
	v_fma_f32 v6, v4, v7, -v5
	s_delay_alu instid0(VALU_DEP_2) | instskip(NEXT) | instid1(VALU_DEP_2)
	v_cvt_f64_f32_e32 v[4:5], v8
	v_cvt_f64_f32_e32 v[6:7], v6
	s_delay_alu instid0(VALU_DEP_2) | instskip(NEXT) | instid1(VALU_DEP_2)
	v_mul_f64_e32 v[4:5], s[2:3], v[4:5]
	v_mul_f64_e32 v[6:7], s[2:3], v[6:7]
	s_delay_alu instid0(VALU_DEP_2) | instskip(NEXT) | instid1(VALU_DEP_2)
	v_cvt_f32_f64_e32 v4, v[4:5]
	v_cvt_f32_f64_e32 v5, v[6:7]
	global_store_b64 v[0:1], v[4:5], off
	global_load_b64 v[8:9], v[84:85], off offset:464
	ds_load_2addr_b64 v[4:7], v117 offset0:58 offset1:73
	s_wait_loadcnt_dscnt 0x0
	v_mul_f32_e32 v10, v5, v9
	v_mul_f32_e32 v9, v4, v9
	s_delay_alu instid0(VALU_DEP_2) | instskip(NEXT) | instid1(VALU_DEP_2)
	v_fmac_f32_e32 v10, v4, v8
	v_fma_f32 v8, v8, v5, -v9
	s_delay_alu instid0(VALU_DEP_2) | instskip(NEXT) | instid1(VALU_DEP_2)
	v_cvt_f64_f32_e32 v[4:5], v10
	v_cvt_f64_f32_e32 v[8:9], v8
	v_mad_co_u64_u32 v[10:11], null, s4, v122, 0
	s_delay_alu instid0(VALU_DEP_3) | instskip(NEXT) | instid1(VALU_DEP_3)
	v_mul_f64_e32 v[4:5], s[2:3], v[4:5]
	v_mul_f64_e32 v[8:9], s[2:3], v[8:9]
	s_delay_alu instid0(VALU_DEP_2) | instskip(NEXT) | instid1(VALU_DEP_2)
	v_cvt_f32_f64_e32 v4, v[4:5]
	v_cvt_f32_f64_e32 v5, v[8:9]
	v_mov_b32_e32 v8, v11
	s_delay_alu instid0(VALU_DEP_1) | instskip(NEXT) | instid1(VALU_DEP_1)
	v_mad_co_u64_u32 v[8:9], null, s5, v122, v[8:9]
	v_mov_b32_e32 v11, v8
	s_delay_alu instid0(VALU_DEP_1) | instskip(NEXT) | instid1(VALU_DEP_1)
	v_lshlrev_b64_e32 v[8:9], 3, v[10:11]
	v_add_co_u32 v8, vcc_lo, v2, v8
	s_wait_alu 0xfffd
	s_delay_alu instid0(VALU_DEP_2)
	v_add_co_ci_u32_e32 v9, vcc_lo, v3, v9, vcc_lo
	v_add_co_u32 v0, vcc_lo, v0, s0
	s_wait_alu 0xfffd
	v_add_co_ci_u32_e32 v1, vcc_lo, s1, v1, vcc_lo
	global_store_b64 v[8:9], v[4:5], off
	global_load_b64 v[4:5], v[84:85], off offset:584
	s_wait_loadcnt 0x0
	v_mul_f32_e32 v8, v7, v5
	v_mul_f32_e32 v5, v6, v5
	s_delay_alu instid0(VALU_DEP_2) | instskip(NEXT) | instid1(VALU_DEP_2)
	v_fmac_f32_e32 v8, v6, v4
	v_fma_f32 v6, v4, v7, -v5
	s_delay_alu instid0(VALU_DEP_2) | instskip(NEXT) | instid1(VALU_DEP_2)
	v_cvt_f64_f32_e32 v[4:5], v8
	v_cvt_f64_f32_e32 v[6:7], v6
	s_delay_alu instid0(VALU_DEP_2) | instskip(NEXT) | instid1(VALU_DEP_2)
	v_mul_f64_e32 v[4:5], s[2:3], v[4:5]
	v_mul_f64_e32 v[6:7], s[2:3], v[6:7]
	s_delay_alu instid0(VALU_DEP_2) | instskip(NEXT) | instid1(VALU_DEP_2)
	v_cvt_f32_f64_e32 v4, v[4:5]
	v_cvt_f32_f64_e32 v5, v[6:7]
	global_store_b64 v[0:1], v[4:5], off
	global_load_b64 v[8:9], v[84:85], off offset:704
	ds_load_2addr_b64 v[4:7], v117 offset0:88 offset1:103
	s_wait_loadcnt_dscnt 0x0
	v_mul_f32_e32 v10, v5, v9
	v_mul_f32_e32 v9, v4, v9
	s_delay_alu instid0(VALU_DEP_2) | instskip(NEXT) | instid1(VALU_DEP_2)
	v_fmac_f32_e32 v10, v4, v8
	v_fma_f32 v8, v8, v5, -v9
	s_delay_alu instid0(VALU_DEP_2) | instskip(NEXT) | instid1(VALU_DEP_2)
	v_cvt_f64_f32_e32 v[4:5], v10
	v_cvt_f64_f32_e32 v[8:9], v8
	v_mad_co_u64_u32 v[10:11], null, s4, v121, 0
	s_delay_alu instid0(VALU_DEP_3) | instskip(NEXT) | instid1(VALU_DEP_3)
	v_mul_f64_e32 v[4:5], s[2:3], v[4:5]
	v_mul_f64_e32 v[8:9], s[2:3], v[8:9]
	s_delay_alu instid0(VALU_DEP_2) | instskip(NEXT) | instid1(VALU_DEP_2)
	v_cvt_f32_f64_e32 v4, v[4:5]
	v_cvt_f32_f64_e32 v5, v[8:9]
	v_mov_b32_e32 v8, v11
	s_delay_alu instid0(VALU_DEP_1) | instskip(NEXT) | instid1(VALU_DEP_1)
	v_mad_co_u64_u32 v[8:9], null, s5, v121, v[8:9]
	v_mov_b32_e32 v11, v8
	s_delay_alu instid0(VALU_DEP_1) | instskip(NEXT) | instid1(VALU_DEP_1)
	v_lshlrev_b64_e32 v[8:9], 3, v[10:11]
	v_add_co_u32 v8, vcc_lo, v2, v8
	s_wait_alu 0xfffd
	s_delay_alu instid0(VALU_DEP_2)
	v_add_co_ci_u32_e32 v9, vcc_lo, v3, v9, vcc_lo
	;; [unrolled: 49-line block ×5, first 2 shown]
	v_add_co_u32 v0, vcc_lo, v0, s0
	s_wait_alu 0xfffd
	v_add_co_ci_u32_e32 v1, vcc_lo, s1, v1, vcc_lo
	global_store_b64 v[2:3], v[4:5], off
	global_load_b64 v[2:3], v[84:85], off offset:1544
	s_wait_loadcnt 0x0
	v_mul_f32_e32 v4, v7, v3
	v_mul_f32_e32 v3, v6, v3
	s_delay_alu instid0(VALU_DEP_2) | instskip(NEXT) | instid1(VALU_DEP_2)
	v_fmac_f32_e32 v4, v6, v2
	v_fma_f32 v5, v2, v7, -v3
	s_delay_alu instid0(VALU_DEP_2) | instskip(NEXT) | instid1(VALU_DEP_2)
	v_cvt_f64_f32_e32 v[2:3], v4
	v_cvt_f64_f32_e32 v[4:5], v5
	s_delay_alu instid0(VALU_DEP_2) | instskip(NEXT) | instid1(VALU_DEP_2)
	v_mul_f64_e32 v[2:3], s[2:3], v[2:3]
	v_mul_f64_e32 v[4:5], s[2:3], v[4:5]
	s_delay_alu instid0(VALU_DEP_2) | instskip(NEXT) | instid1(VALU_DEP_2)
	v_cvt_f32_f64_e32 v2, v[2:3]
	v_cvt_f32_f64_e32 v3, v[4:5]
	global_store_b64 v[0:1], v[2:3], off
.LBB0_15:
	s_nop 0
	s_sendmsg sendmsg(MSG_DEALLOC_VGPRS)
	s_endpgm
	.section	.rodata,"a",@progbits
	.p2align	6, 0x0
	.amdhsa_kernel bluestein_single_back_len195_dim1_sp_op_CI_CI
		.amdhsa_group_segment_fixed_size 6240
		.amdhsa_private_segment_fixed_size 0
		.amdhsa_kernarg_size 104
		.amdhsa_user_sgpr_count 2
		.amdhsa_user_sgpr_dispatch_ptr 0
		.amdhsa_user_sgpr_queue_ptr 0
		.amdhsa_user_sgpr_kernarg_segment_ptr 1
		.amdhsa_user_sgpr_dispatch_id 0
		.amdhsa_user_sgpr_private_segment_size 0
		.amdhsa_wavefront_size32 1
		.amdhsa_uses_dynamic_stack 0
		.amdhsa_enable_private_segment 0
		.amdhsa_system_sgpr_workgroup_id_x 1
		.amdhsa_system_sgpr_workgroup_id_y 0
		.amdhsa_system_sgpr_workgroup_id_z 0
		.amdhsa_system_sgpr_workgroup_info 0
		.amdhsa_system_vgpr_workitem_id 0
		.amdhsa_next_free_vgpr 201
		.amdhsa_next_free_sgpr 16
		.amdhsa_reserve_vcc 1
		.amdhsa_float_round_mode_32 0
		.amdhsa_float_round_mode_16_64 0
		.amdhsa_float_denorm_mode_32 3
		.amdhsa_float_denorm_mode_16_64 3
		.amdhsa_fp16_overflow 0
		.amdhsa_workgroup_processor_mode 1
		.amdhsa_memory_ordered 1
		.amdhsa_forward_progress 0
		.amdhsa_round_robin_scheduling 0
		.amdhsa_exception_fp_ieee_invalid_op 0
		.amdhsa_exception_fp_denorm_src 0
		.amdhsa_exception_fp_ieee_div_zero 0
		.amdhsa_exception_fp_ieee_overflow 0
		.amdhsa_exception_fp_ieee_underflow 0
		.amdhsa_exception_fp_ieee_inexact 0
		.amdhsa_exception_int_div_zero 0
	.end_amdhsa_kernel
	.text
.Lfunc_end0:
	.size	bluestein_single_back_len195_dim1_sp_op_CI_CI, .Lfunc_end0-bluestein_single_back_len195_dim1_sp_op_CI_CI
                                        ; -- End function
	.section	.AMDGPU.csdata,"",@progbits
; Kernel info:
; codeLenInByte = 24084
; NumSgprs: 18
; NumVgprs: 201
; ScratchSize: 0
; MemoryBound: 0
; FloatMode: 240
; IeeeMode: 1
; LDSByteSize: 6240 bytes/workgroup (compile time only)
; SGPRBlocks: 2
; VGPRBlocks: 25
; NumSGPRsForWavesPerEU: 18
; NumVGPRsForWavesPerEU: 201
; Occupancy: 7
; WaveLimiterHint : 1
; COMPUTE_PGM_RSRC2:SCRATCH_EN: 0
; COMPUTE_PGM_RSRC2:USER_SGPR: 2
; COMPUTE_PGM_RSRC2:TRAP_HANDLER: 0
; COMPUTE_PGM_RSRC2:TGID_X_EN: 1
; COMPUTE_PGM_RSRC2:TGID_Y_EN: 0
; COMPUTE_PGM_RSRC2:TGID_Z_EN: 0
; COMPUTE_PGM_RSRC2:TIDIG_COMP_CNT: 0
	.text
	.p2alignl 7, 3214868480
	.fill 96, 4, 3214868480
	.type	__hip_cuid_84a7de971e3199bd,@object ; @__hip_cuid_84a7de971e3199bd
	.section	.bss,"aw",@nobits
	.globl	__hip_cuid_84a7de971e3199bd
__hip_cuid_84a7de971e3199bd:
	.byte	0                               ; 0x0
	.size	__hip_cuid_84a7de971e3199bd, 1

	.ident	"AMD clang version 19.0.0git (https://github.com/RadeonOpenCompute/llvm-project roc-6.4.0 25133 c7fe45cf4b819c5991fe208aaa96edf142730f1d)"
	.section	".note.GNU-stack","",@progbits
	.addrsig
	.addrsig_sym __hip_cuid_84a7de971e3199bd
	.amdgpu_metadata
---
amdhsa.kernels:
  - .args:
      - .actual_access:  read_only
        .address_space:  global
        .offset:         0
        .size:           8
        .value_kind:     global_buffer
      - .actual_access:  read_only
        .address_space:  global
        .offset:         8
        .size:           8
        .value_kind:     global_buffer
      - .actual_access:  read_only
        .address_space:  global
        .offset:         16
        .size:           8
        .value_kind:     global_buffer
      - .actual_access:  read_only
        .address_space:  global
        .offset:         24
        .size:           8
        .value_kind:     global_buffer
      - .actual_access:  read_only
        .address_space:  global
        .offset:         32
        .size:           8
        .value_kind:     global_buffer
      - .offset:         40
        .size:           8
        .value_kind:     by_value
      - .address_space:  global
        .offset:         48
        .size:           8
        .value_kind:     global_buffer
      - .address_space:  global
        .offset:         56
        .size:           8
        .value_kind:     global_buffer
      - .address_space:  global
        .offset:         64
        .size:           8
        .value_kind:     global_buffer
      - .address_space:  global
        .offset:         72
        .size:           8
        .value_kind:     global_buffer
      - .offset:         80
        .size:           4
        .value_kind:     by_value
      - .address_space:  global
        .offset:         88
        .size:           8
        .value_kind:     global_buffer
      - .address_space:  global
        .offset:         96
        .size:           8
        .value_kind:     global_buffer
    .group_segment_fixed_size: 6240
    .kernarg_segment_align: 8
    .kernarg_segment_size: 104
    .language:       OpenCL C
    .language_version:
      - 2
      - 0
    .max_flat_workgroup_size: 52
    .name:           bluestein_single_back_len195_dim1_sp_op_CI_CI
    .private_segment_fixed_size: 0
    .sgpr_count:     18
    .sgpr_spill_count: 0
    .symbol:         bluestein_single_back_len195_dim1_sp_op_CI_CI.kd
    .uniform_work_group_size: 1
    .uses_dynamic_stack: false
    .vgpr_count:     201
    .vgpr_spill_count: 0
    .wavefront_size: 32
    .workgroup_processor_mode: 1
amdhsa.target:   amdgcn-amd-amdhsa--gfx1201
amdhsa.version:
  - 1
  - 2
...

	.end_amdgpu_metadata
